;; amdgpu-corpus repo=ROCm/rocFFT kind=compiled arch=gfx1201 opt=O3
	.text
	.amdgcn_target "amdgcn-amd-amdhsa--gfx1201"
	.amdhsa_code_object_version 6
	.protected	bluestein_single_fwd_len1105_dim1_dp_op_CI_CI ; -- Begin function bluestein_single_fwd_len1105_dim1_dp_op_CI_CI
	.globl	bluestein_single_fwd_len1105_dim1_dp_op_CI_CI
	.p2align	8
	.type	bluestein_single_fwd_len1105_dim1_dp_op_CI_CI,@function
bluestein_single_fwd_len1105_dim1_dp_op_CI_CI: ; @bluestein_single_fwd_len1105_dim1_dp_op_CI_CI
; %bb.0:
	s_load_b128 s[8:11], s[0:1], 0x28
	v_mul_u32_u24_e32 v1, 0x304, v0
	s_mov_b32 s2, exec_lo
	s_delay_alu instid0(VALU_DEP_1) | instskip(NEXT) | instid1(VALU_DEP_1)
	v_lshrrev_b32_e32 v1, 16, v1
	v_mad_co_u64_u32 v[3:4], null, ttmp9, 3, v[1:2]
	v_mov_b32_e32 v4, 0
	s_wait_kmcnt 0x0
	s_delay_alu instid0(VALU_DEP_1)
	v_cmpx_gt_u64_e64 s[8:9], v[3:4]
	s_cbranch_execz .LBB0_23
; %bb.1:
	v_mul_hi_u32 v2, 0xaaaaaaab, v3
	v_mul_lo_u16 v1, 0x55, v1
	s_clause 0x1
	s_load_b64 s[8:9], s[0:1], 0x0
	s_load_b64 s[12:13], s[0:1], 0x38
	s_delay_alu instid0(VALU_DEP_1) | instskip(SKIP_1) | instid1(VALU_DEP_4)
	v_sub_nc_u16 v0, v0, v1
	v_mov_b32_e32 v1, v3
	v_lshrrev_b32_e32 v2, 1, v2
	s_delay_alu instid0(VALU_DEP_3) | instskip(NEXT) | instid1(VALU_DEP_2)
	v_cmp_gt_u16_e32 vcc_lo, 0x41, v0
	v_lshl_add_u32 v2, v2, 1, v2
	scratch_store_b64 off, v[1:2], off offset:44 ; 8-byte Folded Spill
	v_sub_nc_u32_e32 v1, v3, v2
	v_and_b32_e32 v2, 0xffff, v0
	s_delay_alu instid0(VALU_DEP_2) | instskip(NEXT) | instid1(VALU_DEP_2)
	v_mul_u32_u24_e32 v1, 0x451, v1
	v_lshlrev_b32_e32 v255, 4, v2
	scratch_store_b32 off, v2, off          ; 4-byte Folded Spill
	v_lshlrev_b32_e32 v0, 4, v1
	s_clause 0x1
	scratch_store_b32 off, v1, off offset:4
	scratch_store_b32 off, v0, off offset:8
	s_and_saveexec_b32 s3, vcc_lo
	s_cbranch_execz .LBB0_3
; %bb.2:
	s_clause 0x1
	scratch_load_b64 v[0:1], off, off offset:44
	scratch_load_b32 v172, off, off
	s_load_b64 s[4:5], s[0:1], 0x18
	s_wait_kmcnt 0x0
	s_load_b128 s[4:7], s[4:5], 0x0
	s_wait_loadcnt 0x0
	s_wait_kmcnt 0x0
	v_mad_co_u64_u32 v[32:33], null, s4, v172, 0
	s_delay_alu instid0(VALU_DEP_1) | instskip(NEXT) | instid1(VALU_DEP_1)
	v_dual_mov_b32 v2, v0 :: v_dual_mov_b32 v1, v33
	v_mad_co_u64_u32 v[16:17], null, s6, v2, 0
	s_delay_alu instid0(VALU_DEP_1) | instskip(NEXT) | instid1(VALU_DEP_1)
	v_mov_b32_e32 v0, v17
	v_mad_co_u64_u32 v[2:3], null, s7, v2, v[0:1]
	s_delay_alu instid0(VALU_DEP_1)
	v_mov_b32_e32 v17, v2
	v_mad_co_u64_u32 v[18:19], null, s5, v172, v[1:2]
	s_mul_u64 s[4:5], s[4:5], 0x410
	s_clause 0x3
	global_load_b128 v[0:3], v255, s[8:9]
	global_load_b128 v[4:7], v255, s[8:9] offset:1040
	global_load_b128 v[8:11], v255, s[8:9] offset:2080
	;; [unrolled: 1-line block ×3, first 2 shown]
	v_lshlrev_b64_e32 v[34:35], 4, v[16:17]
	v_mov_b32_e32 v33, v18
	s_clause 0x3
	global_load_b128 v[16:19], v255, s[8:9] offset:4160
	global_load_b128 v[20:23], v255, s[8:9] offset:5200
	;; [unrolled: 1-line block ×4, first 2 shown]
	v_add_co_u32 v42, s2, s10, v34
	s_delay_alu instid0(VALU_DEP_1)
	v_add_co_ci_u32_e64 v43, s2, s11, v35, s2
	v_lshlrev_b64_e32 v[40:41], 4, v[32:33]
	s_clause 0x1
	global_load_b128 v[32:35], v255, s[8:9] offset:8320
	global_load_b128 v[36:39], v255, s[8:9] offset:9360
	v_add_co_u32 v56, s2, v42, v40
	s_wait_alu 0xf1ff
	v_add_co_ci_u32_e64 v57, s2, v43, v41, s2
	s_clause 0x1
	global_load_b128 v[40:43], v255, s[8:9] offset:10400
	global_load_b128 v[44:47], v255, s[8:9] offset:11440
	s_wait_alu 0xfffe
	v_add_co_u32 v60, s2, v56, s4
	s_wait_alu 0xf1ff
	v_add_co_ci_u32_e64 v61, s2, s5, v57, s2
	s_clause 0x1
	global_load_b128 v[48:51], v255, s[8:9] offset:12480
	global_load_b128 v[52:55], v255, s[8:9] offset:13520
	v_add_co_u32 v64, s2, v60, s4
	s_wait_alu 0xf1ff
	v_add_co_ci_u32_e64 v65, s2, s5, v61, s2
	s_clause 0x1
	global_load_b128 v[56:59], v[56:57], off
	global_load_b128 v[60:63], v[60:61], off
	v_add_co_u32 v68, s2, v64, s4
	s_wait_alu 0xf1ff
	v_add_co_ci_u32_e64 v69, s2, s5, v65, s2
	s_delay_alu instid0(VALU_DEP_2) | instskip(SKIP_1) | instid1(VALU_DEP_2)
	v_add_co_u32 v72, s2, v68, s4
	s_wait_alu 0xf1ff
	v_add_co_ci_u32_e64 v73, s2, s5, v69, s2
	s_clause 0x1
	global_load_b128 v[64:67], v[64:65], off
	global_load_b128 v[68:71], v[68:69], off
	v_add_co_u32 v76, s2, v72, s4
	s_wait_alu 0xf1ff
	v_add_co_ci_u32_e64 v77, s2, s5, v73, s2
	global_load_b128 v[72:75], v[72:73], off
	v_add_co_u32 v80, s2, v76, s4
	s_wait_alu 0xf1ff
	v_add_co_ci_u32_e64 v81, s2, s5, v77, s2
	;; [unrolled: 4-line block ×12, first 2 shown]
	s_clause 0x1
	global_load_b128 v[116:119], v255, s[8:9] offset:14560
	global_load_b128 v[120:123], v255, s[8:9] offset:15600
	global_load_b128 v[124:127], v[124:125], off
	global_load_b128 v[128:131], v255, s[8:9] offset:16640
	global_load_b128 v[132:135], v[132:133], off
	s_wait_loadcnt 0x13
	v_mul_f64_e32 v[136:137], v[58:59], v[2:3]
	v_mul_f64_e32 v[2:3], v[56:57], v[2:3]
	s_wait_loadcnt 0x12
	v_mul_f64_e32 v[138:139], v[62:63], v[6:7]
	v_mul_f64_e32 v[6:7], v[60:61], v[6:7]
	;; [unrolled: 3-line block ×14, first 2 shown]
	v_fma_f64 v[54:55], v[56:57], v[0:1], v[136:137]
	v_fma_f64 v[56:57], v[58:59], v[0:1], -v[2:3]
	v_fma_f64 v[0:1], v[60:61], v[4:5], v[138:139]
	v_fma_f64 v[2:3], v[62:63], v[4:5], -v[6:7]
	;; [unrolled: 2-line block ×10, first 2 shown]
	s_wait_loadcnt 0x4
	v_mul_f64_e32 v[166:167], v[114:115], v[118:119]
	v_fma_f64 v[36:37], v[96:97], v[40:41], v[156:157]
	v_fma_f64 v[38:39], v[98:99], v[40:41], -v[42:43]
	v_mul_f64_e32 v[118:119], v[112:113], v[118:119]
	s_wait_loadcnt 0x2
	v_mul_f64_e32 v[168:169], v[126:127], v[122:123]
	v_mul_f64_e32 v[122:123], v[124:125], v[122:123]
	v_fma_f64 v[40:41], v[100:101], v[44:45], v[158:159]
	v_fma_f64 v[42:43], v[102:103], v[44:45], -v[46:47]
	s_wait_loadcnt 0x0
	v_mul_f64_e32 v[170:171], v[134:135], v[130:131]
	v_mul_f64_e32 v[130:131], v[132:133], v[130:131]
	v_fma_f64 v[44:45], v[104:105], v[48:49], v[160:161]
	v_fma_f64 v[46:47], v[106:107], v[48:49], -v[50:51]
	v_fma_f64 v[48:49], v[108:109], v[52:53], v[162:163]
	v_fma_f64 v[50:51], v[110:111], v[52:53], -v[164:165]
	scratch_load_b32 v53, off, off offset:8 ; 4-byte Folded Reload
	v_fma_f64 v[58:59], v[112:113], v[116:117], v[166:167]
	v_fma_f64 v[60:61], v[114:115], v[116:117], -v[118:119]
	v_fma_f64 v[62:63], v[124:125], v[120:121], v[168:169]
	v_fma_f64 v[64:65], v[126:127], v[120:121], -v[122:123]
	;; [unrolled: 2-line block ×3, first 2 shown]
	s_wait_loadcnt 0x0
	v_lshl_add_u32 v52, v172, 4, v53
	v_add_nc_u32_e32 v53, v53, v255
	ds_store_b128 v52, v[54:57]
	ds_store_b128 v53, v[0:3] offset:1040
	ds_store_b128 v53, v[4:7] offset:2080
	;; [unrolled: 1-line block ×16, first 2 shown]
.LBB0_3:
	s_or_b32 exec_lo, exec_lo, s3
	s_clause 0x1
	s_load_b64 s[4:5], s[0:1], 0x20
	s_load_b64 s[2:3], s[0:1], 0x8
	global_wb scope:SCOPE_SE
	s_wait_storecnt_dscnt 0x0
	s_wait_kmcnt 0x0
	s_barrier_signal -1
	s_barrier_wait -1
	global_inv scope:SCOPE_SE
                                        ; implicit-def: $vgpr8_vgpr9
                                        ; implicit-def: $vgpr24_vgpr25
                                        ; implicit-def: $vgpr32_vgpr33
                                        ; implicit-def: $vgpr36_vgpr37
                                        ; implicit-def: $vgpr40_vgpr41
                                        ; implicit-def: $vgpr44_vgpr45
                                        ; implicit-def: $vgpr48_vgpr49
                                        ; implicit-def: $vgpr52_vgpr53
                                        ; implicit-def: $vgpr60_vgpr61
                                        ; implicit-def: $vgpr64_vgpr65
                                        ; implicit-def: $vgpr68_vgpr69
                                        ; implicit-def: $vgpr72_vgpr73
                                        ; implicit-def: $vgpr76_vgpr77
                                        ; implicit-def: $vgpr56_vgpr57
                                        ; implicit-def: $vgpr20_vgpr21
                                        ; implicit-def: $vgpr16_vgpr17
                                        ; implicit-def: $vgpr12_vgpr13
	s_and_saveexec_b32 s0, vcc_lo
	s_cbranch_execz .LBB0_5
; %bb.4:
	scratch_load_b32 v0, off, off offset:4  ; 4-byte Folded Reload
	s_wait_loadcnt 0x0
	v_lshl_add_u32 v0, v0, 4, v255
	ds_load_b128 v[8:11], v0
	ds_load_b128 v[24:27], v0 offset:1040
	ds_load_b128 v[32:35], v0 offset:2080
	;; [unrolled: 1-line block ×16, first 2 shown]
.LBB0_5:
	s_wait_alu 0xfffe
	s_or_b32 exec_lo, exec_lo, s0
	s_wait_dscnt 0x0
	v_add_f64_e64 v[166:167], v[26:27], -v[14:15]
	s_mov_b32 s0, 0x5d8e7cdc
	s_mov_b32 s1, 0xbfd71e95
	v_add_f64_e32 v[160:161], v[24:25], v[12:13]
	v_add_f64_e64 v[94:95], v[34:35], -v[18:19]
	s_mov_b32 s6, 0x370991
	s_mov_b32 s10, 0x2a9d6da3
	;; [unrolled: 1-line block ×4, first 2 shown]
	v_add_f64_e32 v[80:81], v[32:33], v[16:17]
	v_add_f64_e64 v[179:180], v[24:25], -v[12:13]
	v_add_f64_e64 v[92:93], v[32:33], -v[16:17]
	s_mov_b32 s14, 0x75d4884
	s_mov_b32 s15, 0x3fe7a5f6
	v_add_f64_e32 v[174:175], v[26:27], v[14:15]
	v_add_f64_e32 v[88:89], v[34:35], v[18:19]
	v_add_f64_e64 v[110:111], v[38:39], -v[22:23]
	s_mov_b32 s18, 0x7c9e640b
	s_mov_b32 s19, 0xbfeca52d
	v_add_f64_e32 v[84:85], v[36:37], v[20:21]
	s_mov_b32 s16, 0x2b2883cd
	s_mov_b32 s17, 0x3fdc86fa
	v_add_f64_e64 v[108:109], v[36:37], -v[20:21]
	v_add_f64_e32 v[100:101], v[38:39], v[22:23]
	v_add_f64_e64 v[122:123], v[42:43], -v[58:59]
	s_mov_b32 s22, 0xeb564b22
	s_mov_b32 s23, 0xbfefdd0d
	v_add_f64_e32 v[96:97], v[40:41], v[56:57]
	s_mov_b32 s20, 0x3259b75e
	s_mov_b32 s21, 0x3fb79ee6
	v_add_f64_e64 v[120:121], v[40:41], -v[56:57]
	v_add_f64_e32 v[112:113], v[42:43], v[58:59]
	v_add_f64_e64 v[146:147], v[46:47], -v[78:79]
	s_mov_b32 s36, 0x923c349f
	s_mov_b32 s37, 0x3feec746
	;; [unrolled: 1-line block ×4, first 2 shown]
	v_add_f64_e32 v[116:117], v[44:45], v[76:77]
	s_wait_alu 0xfffe
	v_mul_f64_e32 v[162:163], s[0:1], v[166:167]
	s_mov_b32 s24, 0xc61f0d01
	s_mov_b32 s25, 0xbfd183b1
	v_add_f64_e64 v[136:137], v[44:45], -v[76:77]
	v_mul_f64_e32 v[2:3], s[10:11], v[94:95]
	v_add_f64_e32 v[128:129], v[46:47], v[78:79]
	v_add_f64_e64 v[164:165], v[50:51], -v[74:75]
	s_mov_b32 s42, 0x6c9a05f6
	s_mov_b32 s43, 0xbfe9895b
	v_add_f64_e32 v[124:125], v[48:49], v[72:73]
	v_mul_f64_e32 v[177:178], s[0:1], v[179:180]
	v_mul_f64_e32 v[4:5], s[10:11], v[92:93]
	s_mov_b32 s28, 0x6ed5f1bb
	s_mov_b32 s29, 0xbfe348c8
	v_add_f64_e64 v[152:153], v[48:49], -v[72:73]
	v_add_f64_e32 v[138:139], v[50:51], v[74:75]
	v_add_f64_e64 v[170:171], v[54:55], -v[70:71]
	s_mov_b32 s40, 0x4363dd80
	s_mov_b32 s41, 0x3fe0d888
	;; [unrolled: 1-line block ×4, first 2 shown]
	v_add_f64_e32 v[132:133], v[52:53], v[68:69]
	v_add_f64_e64 v[158:159], v[52:53], -v[68:69]
	s_mov_b32 s30, 0x910ea3b9
	s_mov_b32 s31, 0xbfeb34fa
	v_add_f64_e32 v[148:149], v[54:55], v[70:71]
	v_add_f64_e64 v[172:173], v[62:63], -v[66:67]
	s_mov_b32 s44, 0xacd6c6b4
	s_mov_b32 s45, 0xbfc7851a
	;; [unrolled: 4-line block ×3, first 2 shown]
	v_add_f64_e32 v[154:155], v[62:63], v[66:67]
	v_mul_f64_e32 v[114:115], s[10:11], v[166:167]
	v_mul_f64_e32 v[181:182], s[22:23], v[94:95]
	;; [unrolled: 1-line block ×4, first 2 shown]
	v_fma_f64 v[0:1], v[160:161], s[6:7], v[162:163]
	v_mul_f64_e32 v[183:184], s[42:43], v[110:111]
	v_mul_f64_e32 v[191:192], s[42:43], v[108:109]
	v_mul_f64_e32 v[185:186], s[44:45], v[122:123]
	scratch_store_b64 off, v[2:3], off offset:52 ; 8-byte Folded Spill
	v_fma_f64 v[2:3], v[80:81], s[14:15], v[2:3]
	v_mul_f64_e32 v[201:202], s[44:45], v[120:121]
	v_mul_f64_e32 v[197:198], s[40:41], v[146:147]
	;; [unrolled: 1-line block ×4, first 2 shown]
	s_mov_b32 s47, 0x3feca52d
	scratch_store_b64 off, v[4:5], off offset:84 ; 8-byte Folded Spill
	v_fma_f64 v[4:5], v[88:89], s[14:15], -v[4:5]
	s_mov_b32 s46, s18
	v_mul_f64_e32 v[233:234], s[36:37], v[152:153]
	s_mov_b32 s49, 0x3fd71e95
	v_mul_f64_e32 v[193:194], s[46:47], v[170:171]
	;; [unrolled: 2-line block ×3, first 2 shown]
	v_mul_f64_e32 v[189:190], s[42:43], v[94:95]
	v_mul_f64_e32 v[130:131], s[18:19], v[179:180]
	;; [unrolled: 1-line block ×5, first 2 shown]
	s_mov_b32 s51, 0x3fc7851a
	s_mov_b32 s50, s44
	v_mul_f64_e32 v[195:196], s[48:49], v[172:173]
	v_mul_f64_e32 v[199:200], s[50:51], v[110:111]
	;; [unrolled: 1-line block ×7, first 2 shown]
	s_mov_b32 s53, 0x3fe58eea
	s_mov_b32 s52, s10
	v_fma_f64 v[6:7], v[80:81], s[20:21], v[181:182]
	v_mul_f64_e32 v[231:232], s[52:53], v[146:147]
	v_fma_f64 v[28:29], v[88:89], s[20:21], -v[187:188]
	v_add_f64_e32 v[0:1], v[8:9], v[0:1]
	v_mul_f64_e32 v[249:250], s[52:53], v[136:137]
	v_mul_f64_e32 v[245:246], s[0:1], v[164:165]
	;; [unrolled: 1-line block ×17, first 2 shown]
	s_mov_b32 s55, 0x3fe9895b
	v_fma_f64 v[30:31], v[80:81], s[28:29], v[189:190]
	s_mov_b32 s54, s42
	v_fma_f64 v[82:83], v[88:89], s[28:29], -v[207:208]
	v_mul_f64_e32 v[247:248], s[54:55], v[170:171]
	v_add_f64_e32 v[0:1], v[2:3], v[0:1]
	v_fma_f64 v[2:3], v[174:175], s[6:7], -v[177:178]
	s_delay_alu instid0(VALU_DEP_1) | instskip(NEXT) | instid1(VALU_DEP_1)
	v_add_f64_e32 v[2:3], v[10:11], v[2:3]
	v_add_f64_e32 v[2:3], v[4:5], v[2:3]
	v_mul_f64_e32 v[4:5], s[18:19], v[110:111]
	scratch_store_b64 off, v[4:5], off offset:68 ; 8-byte Folded Spill
	v_fma_f64 v[4:5], v[84:85], s[16:17], v[4:5]
	s_delay_alu instid0(VALU_DEP_1) | instskip(SKIP_3) | instid1(VALU_DEP_1)
	v_add_f64_e32 v[0:1], v[4:5], v[0:1]
	v_mul_f64_e32 v[4:5], s[18:19], v[108:109]
	scratch_store_b64 off, v[4:5], off offset:116 ; 8-byte Folded Spill
	v_fma_f64 v[4:5], v[100:101], s[16:17], -v[4:5]
	v_add_f64_e32 v[2:3], v[4:5], v[2:3]
	v_mul_f64_e32 v[4:5], s[22:23], v[122:123]
	scratch_store_b64 off, v[4:5], off offset:100 ; 8-byte Folded Spill
	v_fma_f64 v[4:5], v[96:97], s[20:21], v[4:5]
	s_delay_alu instid0(VALU_DEP_1) | instskip(SKIP_3) | instid1(VALU_DEP_1)
	v_add_f64_e32 v[0:1], v[4:5], v[0:1]
	v_mul_f64_e32 v[4:5], s[22:23], v[120:121]
	scratch_store_b64 off, v[4:5], off offset:132 ; 8-byte Folded Spill
	v_fma_f64 v[4:5], v[112:113], s[20:21], -v[4:5]
	;; [unrolled: 9-line block ×4, first 2 shown]
	v_add_f64_e32 v[2:3], v[4:5], v[2:3]
	v_mul_f64_e32 v[4:5], s[38:39], v[170:171]
	scratch_store_b64 off, v[4:5], off offset:196 ; 8-byte Folded Spill
	v_fma_f64 v[4:5], v[132:133], s[30:31], v[4:5]
	s_delay_alu instid0(VALU_DEP_1) | instskip(SKIP_1) | instid1(VALU_DEP_1)
	v_add_f64_e32 v[0:1], v[4:5], v[0:1]
	v_fma_f64 v[4:5], v[148:149], s[30:31], -v[150:151]
	v_add_f64_e32 v[2:3], v[4:5], v[2:3]
	v_mul_f64_e32 v[4:5], s[44:45], v[172:173]
	scratch_store_b64 off, v[4:5], off offset:228 ; 8-byte Folded Spill
	v_fma_f64 v[4:5], v[142:143], s[34:35], v[4:5]
	s_delay_alu instid0(VALU_DEP_1) | instskip(SKIP_1) | instid1(VALU_DEP_1)
	v_add_f64_e32 v[0:1], v[4:5], v[0:1]
	v_fma_f64 v[4:5], v[154:155], s[34:35], -v[156:157]
	v_add_f64_e32 v[2:3], v[4:5], v[2:3]
	v_fma_f64 v[4:5], v[160:161], s[14:15], v[114:115]
	scratch_store_b128 off, v[0:3], off offset:12 ; 16-byte Folded Spill
	v_add_f64_e32 v[4:5], v[8:9], v[4:5]
	s_delay_alu instid0(VALU_DEP_1) | instskip(SKIP_1) | instid1(VALU_DEP_1)
	v_add_f64_e32 v[4:5], v[6:7], v[4:5]
	v_fma_f64 v[6:7], v[174:175], s[14:15], -v[118:119]
	v_add_f64_e32 v[6:7], v[10:11], v[6:7]
	s_delay_alu instid0(VALU_DEP_1) | instskip(SKIP_1) | instid1(VALU_DEP_1)
	v_add_f64_e32 v[6:7], v[28:29], v[6:7]
	v_fma_f64 v[28:29], v[84:85], s[28:29], v[183:184]
	v_add_f64_e32 v[4:5], v[28:29], v[4:5]
	v_fma_f64 v[28:29], v[100:101], s[28:29], -v[191:192]
	s_delay_alu instid0(VALU_DEP_1) | instskip(SKIP_1) | instid1(VALU_DEP_1)
	v_add_f64_e32 v[6:7], v[28:29], v[6:7]
	v_fma_f64 v[28:29], v[96:97], s[34:35], v[185:186]
	v_add_f64_e32 v[4:5], v[28:29], v[4:5]
	v_fma_f64 v[28:29], v[112:113], s[34:35], -v[201:202]
	;; [unrolled: 5-line block ×6, first 2 shown]
	s_delay_alu instid0(VALU_DEP_1)
	v_add_f64_e32 v[2:3], v[28:29], v[6:7]
	v_fma_f64 v[28:29], v[160:161], s[16:17], v[126:127]
	scratch_store_b128 off, v[0:3], off offset:28 ; 16-byte Folded Spill
	v_add_f64_e32 v[28:29], v[8:9], v[28:29]
	global_wb scope:SCOPE_SE
	s_wait_storecnt 0x0
	s_barrier_signal -1
	s_barrier_wait -1
	global_inv scope:SCOPE_SE
	v_add_f64_e32 v[28:29], v[30:31], v[28:29]
	v_fma_f64 v[30:31], v[174:175], s[16:17], -v[130:131]
	s_delay_alu instid0(VALU_DEP_1) | instskip(NEXT) | instid1(VALU_DEP_1)
	v_add_f64_e32 v[30:31], v[10:11], v[30:31]
	v_add_f64_e32 v[30:31], v[82:83], v[30:31]
	v_fma_f64 v[82:83], v[84:85], s[34:35], v[199:200]
	s_delay_alu instid0(VALU_DEP_1) | instskip(SKIP_1) | instid1(VALU_DEP_1)
	v_add_f64_e32 v[28:29], v[82:83], v[28:29]
	v_fma_f64 v[82:83], v[100:101], s[34:35], -v[219:220]
	v_add_f64_e32 v[30:31], v[82:83], v[30:31]
	v_fma_f64 v[82:83], v[96:97], s[24:25], v[203:204]
	s_delay_alu instid0(VALU_DEP_1) | instskip(SKIP_1) | instid1(VALU_DEP_1)
	v_add_f64_e32 v[28:29], v[82:83], v[28:29]
	v_fma_f64 v[82:83], v[112:113], s[24:25], -v[235:236]
	;; [unrolled: 5-line block ×5, first 2 shown]
	v_add_f64_e32 v[30:31], v[82:83], v[30:31]
	v_fma_f64 v[82:83], v[142:143], s[30:31], v[217:218]
	s_delay_alu instid0(VALU_DEP_1) | instskip(SKIP_2) | instid1(VALU_DEP_2)
	v_add_f64_e32 v[104:105], v[82:83], v[28:29]
	v_fma_f64 v[28:29], v[154:155], s[30:31], -v[239:240]
	v_fma_f64 v[82:83], v[88:89], s[34:35], -v[227:228]
	v_add_f64_e32 v[106:107], v[28:29], v[30:31]
	v_fma_f64 v[28:29], v[160:161], s[20:21], v[134:135]
	v_fma_f64 v[30:31], v[80:81], s[34:35], v[209:210]
	s_delay_alu instid0(VALU_DEP_2) | instskip(NEXT) | instid1(VALU_DEP_1)
	v_add_f64_e32 v[28:29], v[8:9], v[28:29]
	v_add_f64_e32 v[28:29], v[30:31], v[28:29]
	v_fma_f64 v[30:31], v[174:175], s[20:21], -v[140:141]
	s_delay_alu instid0(VALU_DEP_1) | instskip(NEXT) | instid1(VALU_DEP_1)
	v_add_f64_e32 v[30:31], v[10:11], v[30:31]
	v_add_f64_e32 v[30:31], v[82:83], v[30:31]
	v_fma_f64 v[82:83], v[84:85], s[24:25], v[221:222]
	s_delay_alu instid0(VALU_DEP_1) | instskip(SKIP_1) | instid1(VALU_DEP_1)
	v_add_f64_e32 v[28:29], v[82:83], v[28:29]
	v_fma_f64 v[82:83], v[100:101], s[24:25], -v[241:242]
	v_add_f64_e32 v[30:31], v[82:83], v[30:31]
	v_fma_f64 v[82:83], v[96:97], s[6:7], v[225:226]
	s_delay_alu instid0(VALU_DEP_1) | instskip(SKIP_1) | instid1(VALU_DEP_1)
	v_add_f64_e32 v[28:29], v[82:83], v[28:29]
	v_fma_f64 v[82:83], v[112:113], s[6:7], -v[251:252]
	;; [unrolled: 5-line block ×3, first 2 shown]
	v_add_f64_e32 v[30:31], v[82:83], v[30:31]
	v_mul_f64_e32 v[82:83], s[38:39], v[164:165]
	s_delay_alu instid0(VALU_DEP_1) | instskip(NEXT) | instid1(VALU_DEP_1)
	v_fma_f64 v[98:99], v[124:125], s[30:31], v[82:83]
	v_add_f64_e32 v[28:29], v[98:99], v[28:29]
	v_mul_f64_e32 v[98:99], s[38:39], v[152:153]
	s_delay_alu instid0(VALU_DEP_1) | instskip(NEXT) | instid1(VALU_DEP_1)
	v_fma_f64 v[102:103], v[138:139], s[30:31], -v[98:99]
	v_add_f64_e32 v[30:31], v[102:103], v[30:31]
	v_fma_f64 v[102:103], v[132:133], s[28:29], v[247:248]
	s_delay_alu instid0(VALU_DEP_1) | instskip(SKIP_1) | instid1(VALU_DEP_1)
	v_add_f64_e32 v[28:29], v[102:103], v[28:29]
	v_mul_f64_e32 v[102:103], s[54:55], v[158:159]
	v_fma_f64 v[243:244], v[148:149], s[28:29], -v[102:103]
	s_delay_alu instid0(VALU_DEP_1) | instskip(SKIP_1) | instid1(VALU_DEP_1)
	v_add_f64_e32 v[30:31], v[243:244], v[30:31]
	v_mul_f64_e32 v[243:244], s[52:53], v[172:173]
	v_fma_f64 v[253:254], v[142:143], s[14:15], v[243:244]
	s_delay_alu instid0(VALU_DEP_1) | instskip(SKIP_1) | instid1(VALU_DEP_1)
	v_add_f64_e32 v[28:29], v[253:254], v[28:29]
	v_mul_f64_e32 v[253:254], s[52:53], v[168:169]
	v_fma_f64 v[144:145], v[154:155], s[14:15], -v[253:254]
	s_delay_alu instid0(VALU_DEP_1)
	v_add_f64_e32 v[30:31], v[144:145], v[30:31]
	s_and_saveexec_b32 s33, vcc_lo
	s_cbranch_execz .LBB0_7
; %bb.6:
	v_add_f64_e32 v[24:25], v[8:9], v[24:25]
	v_add_f64_e32 v[26:27], v[10:11], v[26:27]
	s_mov_b32 s57, 0x3fefdd0d
	s_mov_b32 s56, s22
	scratch_load_b64 v[0:1], off, off offset:212 th:TH_LOAD_LU ; 8-byte Folded Reload
	v_mul_f64_e32 v[144:145], s[56:57], v[172:173]
	v_add_f64_e32 v[24:25], v[24:25], v[32:33]
	v_add_f64_e32 v[26:27], v[26:27], v[34:35]
	v_mul_f64_e32 v[32:33], s[24:25], v[174:175]
	s_delay_alu instid0(VALU_DEP_3) | instskip(NEXT) | instid1(VALU_DEP_3)
	v_add_f64_e32 v[24:25], v[24:25], v[36:37]
	v_add_f64_e32 v[26:27], v[26:27], v[38:39]
	v_mul_f64_e32 v[38:39], s[20:21], v[160:161]
	s_delay_alu instid0(VALU_DEP_4)
	v_fma_f64 v[34:35], v[179:180], s[36:37], v[32:33]
	v_fma_f64 v[32:33], v[179:180], s[26:27], v[32:33]
	v_mul_f64_e32 v[36:37], s[20:21], v[174:175]
	v_add_f64_e32 v[24:25], v[24:25], v[40:41]
	v_add_f64_e32 v[26:27], v[26:27], v[42:43]
	v_mul_f64_e32 v[40:41], s[16:17], v[174:175]
	v_mul_f64_e32 v[42:43], s[16:17], v[160:161]
	v_add_f64_e64 v[38:39], v[38:39], -v[134:135]
	v_add_f64_e32 v[36:37], v[140:141], v[36:37]
	v_mul_f64_e32 v[140:141], s[20:21], v[154:155]
	v_add_f64_e32 v[24:25], v[24:25], v[44:45]
	v_add_f64_e32 v[26:27], v[26:27], v[46:47]
	v_mul_f64_e32 v[46:47], s[14:15], v[160:161]
	v_add_f64_e32 v[40:41], v[130:131], v[40:41]
	v_add_f64_e64 v[42:43], v[42:43], -v[126:127]
	v_mul_f64_e32 v[44:45], s[14:15], v[174:175]
	v_add_f64_e32 v[38:39], v[8:9], v[38:39]
	v_add_f64_e32 v[36:37], v[10:11], v[36:37]
	;; [unrolled: 1-line block ×4, first 2 shown]
	v_mul_f64_e32 v[50:51], s[44:45], v[166:167]
	v_add_f64_e64 v[46:47], v[46:47], -v[114:115]
	v_mul_f64_e32 v[48:49], s[6:7], v[174:175]
	v_add_f64_e32 v[44:45], v[118:119], v[44:45]
	v_add_f64_e32 v[24:25], v[24:25], v[52:53]
	;; [unrolled: 1-line block ×3, first 2 shown]
	v_mul_f64_e32 v[52:53], s[38:39], v[166:167]
	v_mul_f64_e32 v[54:55], s[42:43], v[166:167]
	v_add_f64_e32 v[48:49], v[177:178], v[48:49]
	v_mul_f64_e32 v[177:178], s[24:25], v[124:125]
	v_add_f64_e32 v[24:25], v[24:25], v[60:61]
	v_add_f64_e32 v[26:27], v[26:27], v[62:63]
	v_fma_f64 v[60:61], v[160:161], s[30:31], v[52:53]
	v_fma_f64 v[52:53], v[160:161], s[30:31], -v[52:53]
	v_fma_f64 v[62:63], v[160:161], s[28:29], v[54:55]
	v_fma_f64 v[54:55], v[160:161], s[28:29], -v[54:55]
	v_add_f64_e64 v[177:178], v[177:178], -v[211:212]
	v_add_f64_e32 v[24:25], v[24:25], v[64:65]
	v_add_f64_e32 v[26:27], v[26:27], v[66:67]
	v_mul_f64_e32 v[66:67], s[6:7], v[160:161]
	v_add_f64_e32 v[60:61], v[8:9], v[60:61]
	v_add_f64_e32 v[52:53], v[8:9], v[52:53]
	;; [unrolled: 1-line block ×6, first 2 shown]
	v_add_f64_e64 v[66:67], v[66:67], -v[162:163]
	v_mul_f64_e32 v[162:163], s[24:25], v[154:155]
	s_delay_alu instid0(VALU_DEP_4) | instskip(NEXT) | instid1(VALU_DEP_4)
	v_add_f64_e32 v[24:25], v[24:25], v[72:73]
	v_add_f64_e32 v[26:27], v[26:27], v[74:75]
	v_add_f64_e32 v[74:75], v[10:11], v[34:35]
	v_add_f64_e32 v[34:35], v[8:9], v[42:43]
	v_add_f64_e32 v[66:67], v[8:9], v[66:67]
	v_add_f64_e32 v[24:25], v[24:25], v[76:77]
	v_add_f64_e32 v[26:27], v[26:27], v[78:79]
	v_add_f64_e32 v[76:77], v[10:11], v[32:33]
	v_add_f64_e32 v[32:33], v[10:11], v[40:41]
	v_mul_f64_e32 v[40:41], s[30:31], v[100:101]
	v_add_f64_e32 v[78:79], v[10:11], v[48:49]
	v_add_f64_e32 v[24:25], v[24:25], v[56:57]
	v_add_f64_e32 v[26:27], v[26:27], v[58:59]
	v_mul_f64_e32 v[56:57], s[26:27], v[166:167]
	v_fma_f64 v[58:59], v[160:161], s[34:35], v[50:51]
	v_fma_f64 v[50:51], v[160:161], s[34:35], -v[50:51]
	v_fma_f64 v[42:43], v[108:109], s[40:41], v[40:41]
	v_mul_f64_e32 v[166:167], s[26:27], v[172:173]
	v_add_f64_e32 v[20:21], v[24:25], v[20:21]
	v_add_f64_e32 v[22:23], v[26:27], v[22:23]
	v_mul_f64_e32 v[24:25], s[28:29], v[174:175]
	v_fma_f64 v[64:65], v[160:161], s[24:25], v[56:57]
	v_fma_f64 v[56:57], v[160:161], s[24:25], -v[56:57]
	v_add_f64_e32 v[58:59], v[8:9], v[58:59]
	v_add_f64_e32 v[50:51], v[8:9], v[50:51]
	v_mul_f64_e32 v[160:161], s[52:53], v[170:171]
	v_add_f64_e32 v[16:17], v[20:21], v[16:17]
	v_mul_f64_e32 v[20:21], s[30:31], v[174:175]
	v_add_f64_e32 v[18:19], v[22:23], v[18:19]
	v_fma_f64 v[26:27], v[179:180], s[54:55], v[24:25]
	v_add_f64_e32 v[64:65], v[8:9], v[64:65]
	v_add_f64_e32 v[56:57], v[8:9], v[56:57]
	v_fma_f64 v[24:25], v[179:180], s[42:43], v[24:25]
	v_add_f64_e32 v[12:13], v[16:17], v[12:13]
	v_mul_f64_e32 v[16:17], s[34:35], v[174:175]
	v_fma_f64 v[22:23], v[179:180], s[40:41], v[20:21]
	v_fma_f64 v[20:21], v[179:180], s[38:39], v[20:21]
	v_add_f64_e32 v[14:15], v[18:19], v[14:15]
	v_add_f64_e32 v[70:71], v[10:11], v[26:27]
	;; [unrolled: 1-line block ×5, first 2 shown]
	v_mul_f64_e32 v[174:175], s[20:21], v[88:89]
	v_fma_f64 v[18:19], v[179:180], s[50:51], v[16:17]
	v_fma_f64 v[16:17], v[179:180], s[44:45], v[16:17]
	v_add_f64_e32 v[68:69], v[10:11], v[20:21]
	v_mul_f64_e32 v[20:21], s[6:7], v[88:89]
	v_add_f64_e32 v[22:23], v[10:11], v[22:23]
	v_mul_f64_e32 v[179:180], s[30:31], v[116:117]
	;; [unrolled: 2-line block ×3, first 2 shown]
	v_add_f64_e32 v[18:19], v[10:11], v[18:19]
	v_add_f64_e32 v[16:17], v[10:11], v[16:17]
	v_fma_f64 v[8:9], v[92:93], s[0:1], v[20:21]
	v_fma_f64 v[20:21], v[92:93], s[48:49], v[20:21]
	v_add_f64_e64 v[179:180], v[179:180], -v[197:198]
	v_add_f64_e32 v[24:25], v[174:175], v[24:25]
	v_add_f64_e64 v[181:182], v[187:188], -v[181:182]
	v_mul_f64_e32 v[187:188], s[28:29], v[84:85]
	v_mul_f64_e32 v[174:175], s[34:35], v[96:97]
	v_add_f64_e32 v[8:9], v[8:9], v[18:19]
	v_mul_f64_e32 v[18:19], s[48:49], v[94:95]
	v_add_f64_e32 v[16:17], v[20:21], v[16:17]
	v_fma_f64 v[20:21], v[108:109], s[38:39], v[40:41]
	v_fma_f64 v[40:41], v[142:143], s[20:21], -v[144:145]
	v_add_f64_e32 v[26:27], v[181:182], v[26:27]
	v_add_f64_e64 v[183:184], v[187:188], -v[183:184]
	v_add_f64_e64 v[174:175], v[174:175], -v[185:186]
	v_mul_f64_e32 v[181:182], s[34:35], v[84:85]
	v_mul_f64_e32 v[185:186], s[28:29], v[154:155]
	;; [unrolled: 1-line block ×4, first 2 shown]
	v_add_f64_e32 v[8:9], v[42:43], v[8:9]
	v_fma_f64 v[10:11], v[80:81], s[6:7], v[18:19]
	v_mul_f64_e32 v[42:43], s[38:39], v[110:111]
	v_fma_f64 v[18:19], v[80:81], s[6:7], -v[18:19]
	v_add_f64_e32 v[16:17], v[20:21], v[16:17]
	v_add_f64_e32 v[26:27], v[183:184], v[26:27]
	v_mul_f64_e32 v[183:184], s[0:1], v[170:171]
	v_add_f64_e64 v[181:182], v[181:182], -v[199:200]
	v_mul_f64_e32 v[199:200], s[16:17], v[154:155]
	v_add_f64_e32 v[10:11], v[10:11], v[58:59]
	v_fma_f64 v[44:45], v[84:85], s[30:31], v[42:43]
	v_add_f64_e32 v[18:19], v[18:19], v[50:51]
	v_fma_f64 v[20:21], v[84:85], s[30:31], -v[42:43]
	v_mul_f64_e32 v[50:51], s[46:47], v[94:95]
	v_mul_f64_e32 v[42:43], s[30:31], v[128:129]
	v_add_f64_e32 v[26:27], v[174:175], v[26:27]
	v_mul_f64_e32 v[174:175], s[6:7], v[124:125]
	v_add_f64_e32 v[10:11], v[44:45], v[10:11]
	;; [unrolled: 2-line block ×3, first 2 shown]
	v_add_f64_e32 v[42:43], v[215:216], v[42:43]
	v_add_f64_e32 v[26:27], v[179:180], v[26:27]
	v_mul_f64_e32 v[179:180], s[28:29], v[80:81]
	v_add_f64_e64 v[174:175], v[174:175], -v[245:246]
	v_fma_f64 v[46:47], v[120:121], s[10:11], v[44:45]
	v_fma_f64 v[20:21], v[120:121], s[52:53], v[44:45]
	v_mul_f64_e32 v[44:45], s[34:35], v[112:113]
	v_add_f64_e32 v[26:27], v[177:178], v[26:27]
	v_add_f64_e64 v[179:180], v[179:180], -v[189:190]
	v_mul_f64_e32 v[177:178], s[14:15], v[116:117]
	v_mul_f64_e32 v[189:190], s[24:25], v[88:89]
	v_add_f64_e32 v[8:9], v[46:47], v[8:9]
	v_mul_f64_e32 v[46:47], s[52:53], v[122:123]
	v_add_f64_e32 v[16:17], v[20:21], v[16:17]
	v_add_f64_e32 v[44:45], v[201:202], v[44:45]
	;; [unrolled: 1-line block ×3, first 2 shown]
	v_add_f64_e64 v[177:178], v[177:178], -v[231:232]
	v_mul_f64_e32 v[179:180], s[56:57], v[164:165]
	v_fma_f64 v[48:49], v[96:97], s[14:15], v[46:47]
	v_fma_f64 v[20:21], v[96:97], s[14:15], -v[46:47]
	v_mul_f64_e32 v[46:47], s[28:29], v[100:101]
	v_add_f64_e32 v[34:35], v[181:182], v[34:35]
	v_mul_f64_e32 v[181:182], s[6:7], v[148:149]
	v_add_f64_e32 v[10:11], v[48:49], v[10:11]
	v_mul_f64_e32 v[48:49], s[28:29], v[128:129]
	v_add_f64_e32 v[18:19], v[20:21], v[18:19]
	v_add_f64_e32 v[46:47], v[191:192], v[46:47]
	s_delay_alu instid0(VALU_DEP_3) | instskip(SKIP_2) | instid1(VALU_DEP_4)
	v_fma_f64 v[58:59], v[136:137], s[54:55], v[48:49]
	v_fma_f64 v[20:21], v[136:137], s[42:43], v[48:49]
	v_mul_f64_e32 v[48:49], s[16:17], v[88:89]
	v_add_f64_e32 v[24:25], v[46:47], v[24:25]
	v_mul_f64_e32 v[46:47], s[16:17], v[148:149]
	v_add_f64_e32 v[8:9], v[58:59], v[8:9]
	;; [unrolled: 2-line block ×3, first 2 shown]
	v_add_f64_e32 v[24:25], v[44:45], v[24:25]
	v_mul_f64_e32 v[44:45], s[16:17], v[132:133]
	v_add_f64_e32 v[46:47], v[205:206], v[46:47]
	v_fma_f64 v[114:115], v[116:117], s[28:29], v[58:59]
	v_fma_f64 v[20:21], v[116:117], s[28:29], -v[58:59]
	v_mul_f64_e32 v[58:59], s[20:21], v[100:101]
	v_add_f64_e32 v[24:25], v[42:43], v[24:25]
	v_add_f64_e64 v[44:45], v[44:45], -v[193:194]
	v_mul_f64_e32 v[42:43], s[6:7], v[154:155]
	v_add_f64_e32 v[10:11], v[114:115], v[10:11]
	v_mul_f64_e32 v[114:115], s[16:17], v[138:139]
	v_add_f64_e32 v[18:19], v[20:21], v[18:19]
	v_add_f64_e32 v[44:45], v[44:45], v[26:27]
	;; [unrolled: 1-line block ×3, first 2 shown]
	s_delay_alu instid0(VALU_DEP_4) | instskip(SKIP_2) | instid1(VALU_DEP_3)
	v_fma_f64 v[118:119], v[152:153], s[18:19], v[114:115]
	v_fma_f64 v[20:21], v[152:153], s[46:47], v[114:115]
	v_mul_f64_e32 v[114:115], s[28:29], v[112:113]
	v_add_f64_e32 v[8:9], v[118:119], v[8:9]
	v_mul_f64_e32 v[118:119], s[46:47], v[164:165]
	s_delay_alu instid0(VALU_DEP_4) | instskip(NEXT) | instid1(VALU_DEP_2)
	v_add_f64_e32 v[16:17], v[20:21], v[16:17]
	v_fma_f64 v[126:127], v[124:125], s[16:17], v[118:119]
	v_fma_f64 v[20:21], v[124:125], s[16:17], -v[118:119]
	v_mul_f64_e32 v[118:119], s[54:55], v[122:123]
	s_delay_alu instid0(VALU_DEP_3) | instskip(SKIP_1) | instid1(VALU_DEP_4)
	v_add_f64_e32 v[10:11], v[126:127], v[10:11]
	v_mul_f64_e32 v[126:127], s[24:25], v[148:149]
	v_add_f64_e32 v[18:19], v[20:21], v[18:19]
	s_delay_alu instid0(VALU_DEP_2) | instskip(SKIP_2) | instid1(VALU_DEP_3)
	v_fma_f64 v[130:131], v[158:159], s[36:37], v[126:127]
	v_fma_f64 v[20:21], v[158:159], s[26:27], v[126:127]
	v_mul_f64_e32 v[126:127], s[6:7], v[128:129]
	v_add_f64_e32 v[8:9], v[130:131], v[8:9]
	v_mul_f64_e32 v[130:131], s[26:27], v[170:171]
	s_delay_alu instid0(VALU_DEP_4) | instskip(SKIP_1) | instid1(VALU_DEP_3)
	v_add_f64_e32 v[16:17], v[20:21], v[16:17]
	v_mul_f64_e32 v[170:171], s[44:45], v[170:171]
	v_fma_f64 v[20:21], v[132:133], s[24:25], -v[130:131]
	v_fma_f64 v[134:135], v[132:133], s[24:25], v[130:131]
	v_mul_f64_e32 v[130:131], s[0:1], v[146:147]
	s_delay_alu instid0(VALU_DEP_3) | instskip(SKIP_1) | instid1(VALU_DEP_4)
	v_add_f64_e32 v[20:21], v[20:21], v[18:19]
	v_fma_f64 v[18:19], v[168:169], s[56:57], v[140:141]
	v_add_f64_e32 v[134:135], v[134:135], v[10:11]
	v_fma_f64 v[10:11], v[168:169], s[22:23], v[140:141]
	v_mul_f64_e32 v[140:141], s[44:45], v[164:165]
	v_mul_f64_e32 v[164:165], s[10:11], v[164:165]
	v_add_f64_e32 v[18:19], v[18:19], v[16:17]
	v_add_f64_e32 v[16:17], v[40:41], v[20:21]
	v_fma_f64 v[20:21], v[92:93], s[18:19], v[48:49]
	v_fma_f64 v[40:41], v[108:109], s[56:57], v[58:59]
	v_add_f64_e32 v[10:11], v[10:11], v[8:9]
	v_fma_f64 v[8:9], v[142:143], s[20:21], v[144:145]
	v_mul_f64_e32 v[144:145], s[14:15], v[148:149]
	v_fma_f64 v[48:49], v[92:93], s[46:47], v[48:49]
	v_add_f64_e32 v[20:21], v[20:21], v[22:23]
	v_fma_f64 v[22:23], v[80:81], s[16:17], v[50:51]
	v_fma_f64 v[50:51], v[80:81], s[16:17], -v[50:51]
	v_add_f64_e32 v[8:9], v[8:9], v[134:135]
	v_mul_f64_e32 v[134:135], s[34:35], v[138:139]
	v_add_f64_e32 v[48:49], v[48:49], v[68:69]
	v_add_f64_e32 v[20:21], v[40:41], v[20:21]
	;; [unrolled: 1-line block ×3, first 2 shown]
	v_mul_f64_e32 v[60:61], s[22:23], v[110:111]
	v_add_f64_e32 v[50:51], v[50:51], v[52:53]
	v_fma_f64 v[52:53], v[108:109], s[22:23], v[58:59]
	v_fma_f64 v[58:59], v[142:143], s[24:25], -v[166:167]
	s_delay_alu instid0(VALU_DEP_4) | instskip(NEXT) | instid1(VALU_DEP_3)
	v_fma_f64 v[40:41], v[84:85], s[20:21], v[60:61]
	v_add_f64_e32 v[48:49], v[52:53], v[48:49]
	v_fma_f64 v[52:53], v[84:85], s[20:21], -v[60:61]
	v_fma_f64 v[60:61], v[142:143], s[16:17], v[172:173]
	s_delay_alu instid0(VALU_DEP_4) | instskip(SKIP_1) | instid1(VALU_DEP_4)
	v_add_f64_e32 v[22:23], v[40:41], v[22:23]
	v_fma_f64 v[40:41], v[120:121], s[42:43], v[114:115]
	v_add_f64_e32 v[50:51], v[52:53], v[50:51]
	v_fma_f64 v[52:53], v[120:121], s[54:55], v[114:115]
	s_delay_alu instid0(VALU_DEP_3) | instskip(SKIP_1) | instid1(VALU_DEP_3)
	v_add_f64_e32 v[20:21], v[40:41], v[20:21]
	v_fma_f64 v[40:41], v[96:97], s[28:29], v[118:119]
	v_add_f64_e32 v[48:49], v[52:53], v[48:49]
	v_fma_f64 v[52:53], v[96:97], s[28:29], -v[118:119]
	s_delay_alu instid0(VALU_DEP_3) | instskip(SKIP_1) | instid1(VALU_DEP_3)
	v_add_f64_e32 v[22:23], v[40:41], v[22:23]
	v_fma_f64 v[40:41], v[136:137], s[48:49], v[126:127]
	v_add_f64_e32 v[50:51], v[52:53], v[50:51]
	v_fma_f64 v[52:53], v[136:137], s[0:1], v[126:127]
	s_delay_alu instid0(VALU_DEP_3) | instskip(SKIP_1) | instid1(VALU_DEP_3)
	v_add_f64_e32 v[20:21], v[40:41], v[20:21]
	v_fma_f64 v[40:41], v[116:117], s[6:7], v[130:131]
	v_add_f64_e32 v[48:49], v[52:53], v[48:49]
	v_fma_f64 v[52:53], v[116:117], s[6:7], -v[130:131]
	s_delay_alu instid0(VALU_DEP_3) | instskip(SKIP_1) | instid1(VALU_DEP_3)
	;; [unrolled: 10-line block ×4, first 2 shown]
	v_add_f64_e32 v[40:41], v[40:41], v[22:23]
	v_fma_f64 v[22:23], v[168:169], s[36:37], v[162:163]
	v_add_f64_e32 v[52:53], v[52:53], v[50:51]
	v_fma_f64 v[50:51], v[168:169], s[26:27], v[162:163]
	s_delay_alu instid0(VALU_DEP_3) | instskip(SKIP_1) | instid1(VALU_DEP_3)
	v_add_f64_e32 v[22:23], v[22:23], v[20:21]
	v_fma_f64 v[20:21], v[142:143], s[24:25], v[166:167]
	v_add_f64_e32 v[50:51], v[50:51], v[48:49]
	v_add_f64_e32 v[48:49], v[58:59], v[52:53]
	v_fma_f64 v[52:53], v[92:93], s[26:27], v[189:190]
	s_delay_alu instid0(VALU_DEP_4) | instskip(SKIP_1) | instid1(VALU_DEP_3)
	v_add_f64_e32 v[20:21], v[20:21], v[40:41]
	v_mul_f64_e32 v[40:41], s[24:25], v[138:139]
	v_add_f64_e32 v[52:53], v[52:53], v[70:71]
	s_delay_alu instid0(VALU_DEP_2) | instskip(NEXT) | instid1(VALU_DEP_1)
	v_add_f64_e32 v[40:41], v[233:234], v[40:41]
	v_add_f64_e32 v[24:25], v[40:41], v[24:25]
	v_mul_f64_e32 v[40:41], s[6:7], v[142:143]
	s_delay_alu instid0(VALU_DEP_2) | instskip(NEXT) | instid1(VALU_DEP_2)
	v_add_f64_e32 v[24:25], v[46:47], v[24:25]
	v_add_f64_e64 v[40:41], v[40:41], -v[195:196]
	v_mul_f64_e32 v[46:47], s[34:35], v[100:101]
	s_delay_alu instid0(VALU_DEP_3) | instskip(NEXT) | instid1(VALU_DEP_3)
	v_add_f64_e32 v[26:27], v[42:43], v[24:25]
	v_add_f64_e32 v[24:25], v[40:41], v[44:45]
	v_mul_f64_e32 v[40:41], s[6:7], v[138:139]
	v_mul_f64_e32 v[44:45], s[24:25], v[112:113]
	v_add_f64_e32 v[46:47], v[219:220], v[46:47]
	v_mul_f64_e32 v[42:43], s[14:15], v[128:129]
	s_delay_alu instid0(VALU_DEP_4) | instskip(SKIP_2) | instid1(VALU_DEP_4)
	v_add_f64_e32 v[40:41], v[86:87], v[40:41]
	v_mul_f64_e32 v[86:87], s[28:29], v[88:89]
	v_add_f64_e32 v[44:45], v[235:236], v[44:45]
	v_add_f64_e32 v[42:43], v[249:250], v[42:43]
	s_delay_alu instid0(VALU_DEP_3) | instskip(NEXT) | instid1(VALU_DEP_1)
	v_add_f64_e32 v[86:87], v[207:208], v[86:87]
	v_add_f64_e32 v[32:33], v[86:87], v[32:33]
	v_mul_f64_e32 v[86:87], s[24:25], v[96:97]
	s_delay_alu instid0(VALU_DEP_2) | instskip(NEXT) | instid1(VALU_DEP_2)
	v_add_f64_e32 v[32:33], v[46:47], v[32:33]
	v_add_f64_e64 v[86:87], v[86:87], -v[203:204]
	v_mul_f64_e32 v[46:47], s[20:21], v[148:149]
	s_delay_alu instid0(VALU_DEP_3) | instskip(NEXT) | instid1(VALU_DEP_3)
	v_add_f64_e32 v[32:33], v[44:45], v[32:33]
	v_add_f64_e32 v[34:35], v[86:87], v[34:35]
	s_delay_alu instid0(VALU_DEP_3)
	v_add_f64_e32 v[46:47], v[237:238], v[46:47]
	v_mul_f64_e32 v[44:45], s[20:21], v[132:133]
	v_mul_f64_e32 v[86:87], s[24:25], v[100:101]
	v_add_f64_e32 v[32:33], v[42:43], v[32:33]
	v_add_f64_e32 v[34:35], v[177:178], v[34:35]
	v_mul_f64_e32 v[42:43], s[30:31], v[154:155]
	v_add_f64_e64 v[44:45], v[44:45], -v[223:224]
	v_add_f64_e32 v[86:87], v[241:242], v[86:87]
	v_mul_f64_e32 v[177:178], s[20:21], v[138:139]
	v_add_f64_e32 v[32:33], v[40:41], v[32:33]
	v_add_f64_e32 v[34:35], v[174:175], v[34:35]
	;; [unrolled: 1-line block ×3, first 2 shown]
	v_mul_f64_e32 v[40:41], s[30:31], v[142:143]
	v_mul_f64_e32 v[174:175], s[44:45], v[146:147]
	;; [unrolled: 1-line block ×3, first 2 shown]
	v_add_f64_e32 v[32:33], v[46:47], v[32:33]
	v_add_f64_e32 v[44:45], v[44:45], v[34:35]
	v_mul_f64_e32 v[46:47], s[6:7], v[112:113]
	v_add_f64_e64 v[40:41], v[40:41], -v[217:218]
	s_delay_alu instid0(VALU_DEP_4) | instskip(SKIP_1) | instid1(VALU_DEP_4)
	v_add_f64_e32 v[34:35], v[42:43], v[32:33]
	v_mul_f64_e32 v[42:43], s[30:31], v[138:139]
	v_add_f64_e32 v[46:47], v[251:252], v[46:47]
	s_delay_alu instid0(VALU_DEP_4) | instskip(SKIP_4) | instid1(VALU_DEP_4)
	v_add_f64_e32 v[32:33], v[40:41], v[44:45]
	v_mul_f64_e32 v[44:45], s[16:17], v[128:129]
	v_mul_f64_e32 v[40:41], s[28:29], v[148:149]
	v_add_f64_e32 v[42:43], v[98:99], v[42:43]
	v_mul_f64_e32 v[98:99], s[30:31], v[124:125]
	v_add_f64_e32 v[44:45], v[90:91], v[44:45]
	v_mul_f64_e32 v[90:91], s[34:35], v[88:89]
	v_add_f64_e32 v[40:41], v[102:103], v[40:41]
	v_mul_f64_e32 v[102:103], s[24:25], v[84:85]
	v_add_f64_e64 v[82:83], v[98:99], -v[82:83]
	v_mul_f64_e32 v[98:99], s[34:35], v[80:81]
	v_add_f64_e32 v[90:91], v[227:228], v[90:91]
	s_delay_alu instid0(VALU_DEP_4) | instskip(NEXT) | instid1(VALU_DEP_3)
	v_add_f64_e64 v[102:103], v[102:103], -v[221:222]
	v_add_f64_e64 v[98:99], v[98:99], -v[209:210]
	s_delay_alu instid0(VALU_DEP_3) | instskip(SKIP_1) | instid1(VALU_DEP_3)
	v_add_f64_e32 v[36:37], v[90:91], v[36:37]
	v_mul_f64_e32 v[90:91], s[6:7], v[96:97]
	v_add_f64_e32 v[38:39], v[98:99], v[38:39]
	v_mul_f64_e32 v[98:99], s[18:19], v[122:123]
	s_delay_alu instid0(VALU_DEP_4) | instskip(NEXT) | instid1(VALU_DEP_4)
	v_add_f64_e32 v[36:37], v[86:87], v[36:37]
	v_add_f64_e64 v[90:91], v[90:91], -v[225:226]
	v_mul_f64_e32 v[86:87], s[16:17], v[116:117]
	v_mul_f64_e32 v[122:123], s[38:39], v[122:123]
	v_add_f64_e32 v[38:39], v[102:103], v[38:39]
	v_mul_f64_e32 v[102:103], s[34:35], v[128:129]
	v_add_f64_e32 v[36:37], v[46:47], v[36:37]
	v_mul_f64_e32 v[46:47], s[28:29], v[132:133]
	v_add_f64_e64 v[86:87], v[86:87], -v[229:230]
	v_add_f64_e32 v[38:39], v[90:91], v[38:39]
	v_mul_f64_e32 v[90:91], s[16:17], v[112:113]
	v_add_f64_e32 v[36:37], v[44:45], v[36:37]
	v_add_f64_e64 v[46:47], v[46:47], -v[247:248]
	v_mul_f64_e32 v[44:45], s[14:15], v[154:155]
	v_fma_f64 v[68:69], v[136:137], s[50:51], v[102:103]
	v_add_f64_e32 v[38:39], v[86:87], v[38:39]
	v_mul_f64_e32 v[86:87], s[52:53], v[110:111]
	v_add_f64_e32 v[36:37], v[42:43], v[36:37]
	v_mul_f64_e32 v[42:43], s[14:15], v[142:143]
	v_add_f64_e32 v[44:45], v[253:254], v[44:45]
	v_fma_f64 v[70:71], v[120:121], s[46:47], v[90:91]
	v_add_f64_e32 v[38:39], v[82:83], v[38:39]
	v_mul_f64_e32 v[82:83], s[30:31], v[88:89]
	v_add_f64_e32 v[36:37], v[40:41], v[36:37]
	v_add_f64_e64 v[42:43], v[42:43], -v[243:244]
	s_delay_alu instid0(VALU_DEP_4) | instskip(NEXT) | instid1(VALU_DEP_3)
	v_add_f64_e32 v[40:41], v[46:47], v[38:39]
	v_add_f64_e32 v[38:39], v[44:45], v[36:37]
	s_delay_alu instid0(VALU_DEP_2) | instskip(SKIP_1) | instid1(VALU_DEP_1)
	v_add_f64_e32 v[36:37], v[42:43], v[40:41]
	v_fma_f64 v[40:41], v[92:93], s[40:41], v[82:83]
	v_add_f64_e32 v[40:41], v[40:41], v[76:77]
	v_mul_f64_e32 v[76:77], s[40:41], v[94:95]
	s_delay_alu instid0(VALU_DEP_1) | instskip(NEXT) | instid1(VALU_DEP_1)
	v_fma_f64 v[42:43], v[80:81], s[30:31], -v[76:77]
	v_add_f64_e32 v[42:43], v[42:43], v[56:57]
	v_mul_f64_e32 v[56:57], s[14:15], v[100:101]
	s_delay_alu instid0(VALU_DEP_1) | instskip(SKIP_1) | instid1(VALU_DEP_2)
	v_fma_f64 v[44:45], v[108:109], s[52:53], v[56:57]
	v_fma_f64 v[56:57], v[108:109], s[10:11], v[56:57]
	v_add_f64_e32 v[40:41], v[44:45], v[40:41]
	v_fma_f64 v[44:45], v[84:85], s[14:15], -v[86:87]
	s_delay_alu instid0(VALU_DEP_1) | instskip(SKIP_1) | instid1(VALU_DEP_1)
	v_add_f64_e32 v[42:43], v[44:45], v[42:43]
	v_fma_f64 v[44:45], v[120:121], s[18:19], v[90:91]
	v_add_f64_e32 v[40:41], v[44:45], v[40:41]
	v_fma_f64 v[44:45], v[96:97], s[16:17], -v[98:99]
	s_delay_alu instid0(VALU_DEP_1) | instskip(SKIP_1) | instid1(VALU_DEP_1)
	v_add_f64_e32 v[42:43], v[44:45], v[42:43]
	;; [unrolled: 5-line block ×6, first 2 shown]
	v_fma_f64 v[44:45], v[92:93], s[36:37], v[189:190]
	v_add_f64_e32 v[44:45], v[44:45], v[72:73]
	v_mul_f64_e32 v[72:73], s[36:37], v[94:95]
	s_delay_alu instid0(VALU_DEP_1) | instskip(SKIP_2) | instid1(VALU_DEP_3)
	v_fma_f64 v[46:47], v[80:81], s[24:25], -v[72:73]
	v_fma_f64 v[58:59], v[80:81], s[24:25], v[72:73]
	v_fma_f64 v[72:73], v[168:169], s[54:55], v[185:186]
	v_add_f64_e32 v[46:47], v[46:47], v[54:55]
	v_mul_f64_e32 v[54:55], s[6:7], v[100:101]
	s_delay_alu instid0(VALU_DEP_4) | instskip(SKIP_1) | instid1(VALU_DEP_3)
	v_add_f64_e32 v[58:59], v[58:59], v[62:63]
	v_fma_f64 v[62:63], v[152:153], s[22:23], v[177:178]
	v_fma_f64 v[94:95], v[108:109], s[0:1], v[54:55]
	;; [unrolled: 1-line block ×3, first 2 shown]
	s_delay_alu instid0(VALU_DEP_2) | instskip(SKIP_1) | instid1(VALU_DEP_3)
	v_add_f64_e32 v[44:45], v[94:95], v[44:45]
	v_mul_f64_e32 v[94:95], s[0:1], v[110:111]
	v_add_f64_e32 v[52:53], v[54:55], v[52:53]
	s_delay_alu instid0(VALU_DEP_2) | instskip(SKIP_1) | instid1(VALU_DEP_2)
	v_fma_f64 v[110:111], v[84:85], s[6:7], -v[94:95]
	v_fma_f64 v[54:55], v[84:85], s[6:7], v[94:95]
	v_add_f64_e32 v[46:47], v[110:111], v[46:47]
	v_mul_f64_e32 v[110:111], s[30:31], v[112:113]
	s_delay_alu instid0(VALU_DEP_3) | instskip(NEXT) | instid1(VALU_DEP_2)
	v_add_f64_e32 v[54:55], v[54:55], v[58:59]
	v_fma_f64 v[191:192], v[120:121], s[38:39], v[110:111]
	v_fma_f64 v[58:59], v[120:121], s[40:41], v[110:111]
	s_delay_alu instid0(VALU_DEP_2) | instskip(SKIP_1) | instid1(VALU_DEP_3)
	v_add_f64_e32 v[44:45], v[191:192], v[44:45]
	v_fma_f64 v[191:192], v[96:97], s[30:31], -v[122:123]
	v_add_f64_e32 v[52:53], v[58:59], v[52:53]
	v_fma_f64 v[58:59], v[96:97], s[30:31], v[122:123]
	s_delay_alu instid0(VALU_DEP_3) | instskip(SKIP_1) | instid1(VALU_DEP_3)
	v_add_f64_e32 v[46:47], v[191:192], v[46:47]
	v_mul_f64_e32 v[191:192], s[20:21], v[128:129]
	v_add_f64_e32 v[54:55], v[58:59], v[54:55]
	s_delay_alu instid0(VALU_DEP_2) | instskip(SKIP_1) | instid1(VALU_DEP_2)
	v_fma_f64 v[193:194], v[136:137], s[56:57], v[191:192]
	v_fma_f64 v[58:59], v[136:137], s[22:23], v[191:192]
	v_add_f64_e32 v[44:45], v[193:194], v[44:45]
	v_fma_f64 v[193:194], v[116:117], s[20:21], -v[146:147]
	s_delay_alu instid0(VALU_DEP_3) | instskip(SKIP_1) | instid1(VALU_DEP_3)
	v_add_f64_e32 v[52:53], v[58:59], v[52:53]
	v_fma_f64 v[58:59], v[116:117], s[20:21], v[146:147]
	v_add_f64_e32 v[46:47], v[193:194], v[46:47]
	v_mul_f64_e32 v[193:194], s[14:15], v[138:139]
	s_delay_alu instid0(VALU_DEP_3) | instskip(NEXT) | instid1(VALU_DEP_2)
	v_add_f64_e32 v[54:55], v[58:59], v[54:55]
	v_fma_f64 v[195:196], v[152:153], s[10:11], v[193:194]
	v_fma_f64 v[58:59], v[152:153], s[52:53], v[193:194]
	s_delay_alu instid0(VALU_DEP_2) | instskip(SKIP_1) | instid1(VALU_DEP_3)
	v_add_f64_e32 v[44:45], v[195:196], v[44:45]
	v_fma_f64 v[195:196], v[124:125], s[14:15], -v[164:165]
	v_add_f64_e32 v[52:53], v[58:59], v[52:53]
	v_fma_f64 v[58:59], v[124:125], s[14:15], v[164:165]
	s_delay_alu instid0(VALU_DEP_3) | instskip(SKIP_1) | instid1(VALU_DEP_3)
	v_add_f64_e32 v[46:47], v[195:196], v[46:47]
	v_mul_f64_e32 v[195:196], s[34:35], v[148:149]
	v_add_f64_e32 v[54:55], v[58:59], v[54:55]
	s_delay_alu instid0(VALU_DEP_2) | instskip(SKIP_1) | instid1(VALU_DEP_2)
	v_fma_f64 v[58:59], v[158:159], s[50:51], v[195:196]
	v_fma_f64 v[197:198], v[158:159], s[44:45], v[195:196]
	v_add_f64_e32 v[52:53], v[58:59], v[52:53]
	v_fma_f64 v[58:59], v[132:133], s[34:35], v[170:171]
	s_delay_alu instid0(VALU_DEP_3) | instskip(SKIP_1) | instid1(VALU_DEP_3)
	v_add_f64_e32 v[44:45], v[197:198], v[44:45]
	v_fma_f64 v[197:198], v[132:133], s[34:35], -v[170:171]
	v_add_f64_e32 v[58:59], v[58:59], v[54:55]
	v_fma_f64 v[54:55], v[168:169], s[18:19], v[199:200]
	s_delay_alu instid0(VALU_DEP_3) | instskip(SKIP_1) | instid1(VALU_DEP_3)
	v_add_f64_e32 v[197:198], v[197:198], v[46:47]
	v_fma_f64 v[46:47], v[168:169], s[46:47], v[199:200]
	v_add_f64_e32 v[54:55], v[54:55], v[52:53]
	v_add_f64_e32 v[52:53], v[60:61], v[58:59]
	v_fma_f64 v[58:59], v[92:93], s[38:39], v[82:83]
	v_fma_f64 v[60:61], v[158:159], s[48:49], v[181:182]
	v_add_f64_e32 v[46:47], v[46:47], v[44:45]
	v_fma_f64 v[44:45], v[142:143], s[16:17], -v[172:173]
	s_delay_alu instid0(VALU_DEP_4)
	v_add_f64_e32 v[58:59], v[58:59], v[74:75]
	v_fma_f64 v[74:75], v[80:81], s[30:31], v[76:77]
	v_mul_f64_e32 v[76:77], s[14:15], v[80:81]
	v_mul_f64_e32 v[80:81], s[16:17], v[84:85]
	v_add_f64_e32 v[44:45], v[44:45], v[197:198]
	v_add_f64_e32 v[56:57], v[56:57], v[58:59]
	;; [unrolled: 1-line block ×3, first 2 shown]
	v_fma_f64 v[58:59], v[84:85], s[14:15], v[86:87]
	v_mul_f64_e32 v[74:75], s[24:25], v[116:117]
	s_delay_alu instid0(VALU_DEP_4) | instskip(SKIP_1) | instid1(VALU_DEP_4)
	v_add_f64_e32 v[56:57], v[70:71], v[56:57]
	v_mul_f64_e32 v[70:71], s[14:15], v[88:89]
	v_add_f64_e32 v[58:59], v[58:59], v[64:65]
	v_fma_f64 v[64:65], v[96:97], s[16:17], v[98:99]
	s_delay_alu instid0(VALU_DEP_4) | instskip(SKIP_1) | instid1(VALU_DEP_3)
	v_add_f64_e32 v[56:57], v[68:69], v[56:57]
	v_mul_f64_e32 v[68:69], s[16:17], v[100:101]
	v_add_f64_e32 v[58:59], v[64:65], v[58:59]
	v_fma_f64 v[64:65], v[116:117], s[34:35], v[174:175]
	s_delay_alu instid0(VALU_DEP_4) | instskip(SKIP_1) | instid1(VALU_DEP_3)
	v_add_f64_e32 v[56:57], v[62:63], v[56:57]
	v_fma_f64 v[62:63], v[124:125], s[20:21], v[179:180]
	v_add_f64_e32 v[58:59], v[64:65], v[58:59]
	v_mul_f64_e32 v[64:65], s[20:21], v[112:113]
	s_delay_alu instid0(VALU_DEP_4) | instskip(SKIP_1) | instid1(VALU_DEP_4)
	v_add_f64_e32 v[56:57], v[60:61], v[56:57]
	v_fma_f64 v[60:61], v[132:133], s[6:7], v[183:184]
	v_add_f64_e32 v[58:59], v[62:63], v[58:59]
	v_fma_f64 v[62:63], v[142:143], s[28:29], v[187:188]
	s_delay_alu instid0(VALU_DEP_2) | instskip(SKIP_2) | instid1(VALU_DEP_3)
	v_add_f64_e32 v[60:61], v[60:61], v[58:59]
	v_add_f64_e32 v[58:59], v[72:73], v[56:57]
	v_mul_f64_e32 v[72:73], s[28:29], v[124:125]
	v_add_f64_e32 v[56:57], v[62:63], v[60:61]
	v_mul_f64_e32 v[60:61], s[28:29], v[138:139]
	v_mul_f64_e32 v[62:63], s[24:25], v[128:129]
	s_wait_loadcnt 0x0
	s_delay_alu instid0(VALU_DEP_2)
	v_add_f64_e32 v[60:61], v[0:1], v[60:61]
	scratch_load_b64 v[0:1], off, off offset:180 th:TH_LOAD_LU ; 8-byte Folded Reload
	s_wait_loadcnt 0x0
	v_add_f64_e32 v[62:63], v[0:1], v[62:63]
	scratch_load_b64 v[0:1], off, off offset:132 th:TH_LOAD_LU ; 8-byte Folded Reload
	s_wait_loadcnt 0x0
	;; [unrolled: 3-line block ×4, first 2 shown]
	v_add_f64_e32 v[70:71], v[0:1], v[70:71]
	scratch_load_b64 v[0:1], off, off offset:164 th:TH_LOAD_LU ; 8-byte Folded Reload
	v_add_f64_e32 v[70:71], v[70:71], v[78:79]
	s_delay_alu instid0(VALU_DEP_1) | instskip(SKIP_1) | instid1(VALU_DEP_2)
	v_add_f64_e32 v[68:69], v[68:69], v[70:71]
	v_mul_f64_e32 v[70:71], s[30:31], v[148:149]
	v_add_f64_e32 v[64:65], v[64:65], v[68:69]
	v_mul_f64_e32 v[68:69], s[30:31], v[132:133]
	s_delay_alu instid0(VALU_DEP_3) | instskip(NEXT) | instid1(VALU_DEP_3)
	v_add_f64_e32 v[70:71], v[150:151], v[70:71]
	v_add_f64_e32 v[62:63], v[62:63], v[64:65]
	s_delay_alu instid0(VALU_DEP_1) | instskip(NEXT) | instid1(VALU_DEP_1)
	v_add_f64_e32 v[60:61], v[60:61], v[62:63]
	v_add_f64_e32 v[60:61], v[70:71], v[60:61]
	s_wait_loadcnt 0x0
	v_add_f64_e64 v[72:73], v[72:73], -v[0:1]
	scratch_load_b64 v[0:1], off, off offset:148 th:TH_LOAD_LU ; 8-byte Folded Reload
	s_wait_loadcnt 0x0
	v_add_f64_e64 v[74:75], v[74:75], -v[0:1]
	scratch_load_b64 v[0:1], off, off offset:52 th:TH_LOAD_LU ; 8-byte Folded Reload
	;; [unrolled: 3-line block ×3, first 2 shown]
	v_add_f64_e32 v[66:67], v[76:77], v[66:67]
	v_mul_f64_e32 v[76:77], s[20:21], v[96:97]
	s_wait_loadcnt 0x0
	v_add_f64_e64 v[80:81], v[80:81], -v[0:1]
	scratch_load_b64 v[0:1], off, off offset:100 th:TH_LOAD_LU ; 8-byte Folded Reload
	v_add_f64_e32 v[66:67], v[80:81], v[66:67]
	s_wait_loadcnt 0x0
	v_add_f64_e64 v[76:77], v[76:77], -v[0:1]
	scratch_load_b64 v[0:1], off, off offset:196 th:TH_LOAD_LU ; 8-byte Folded Reload
	v_add_f64_e32 v[66:67], v[76:77], v[66:67]
	s_delay_alu instid0(VALU_DEP_1) | instskip(SKIP_1) | instid1(VALU_DEP_2)
	v_add_f64_e32 v[64:65], v[74:75], v[66:67]
	v_mul_f64_e32 v[66:67], s[34:35], v[154:155]
	v_add_f64_e32 v[62:63], v[72:73], v[64:65]
	v_mul_f64_e32 v[64:65], s[34:35], v[142:143]
	s_delay_alu instid0(VALU_DEP_3)
	v_add_f64_e32 v[66:67], v[156:157], v[66:67]
	s_wait_loadcnt 0x0
	v_add_f64_e64 v[68:69], v[68:69], -v[0:1]
	scratch_load_b64 v[0:1], off, off offset:228 th:TH_LOAD_LU ; 8-byte Folded Reload
	v_add_f64_e32 v[68:69], v[68:69], v[62:63]
	v_add_f64_e32 v[62:63], v[66:67], v[60:61]
	s_wait_loadcnt 0x0
	v_add_f64_e64 v[64:65], v[64:65], -v[0:1]
	s_clause 0x1
	scratch_load_b32 v0, off, off
	scratch_load_b32 v1, off, off offset:4
	v_add_f64_e32 v[60:61], v[64:65], v[68:69]
	s_wait_loadcnt 0x1
	v_mul_lo_u16 v0, v0, 17
	s_delay_alu instid0(VALU_DEP_1) | instskip(SKIP_1) | instid1(VALU_DEP_1)
	v_and_b32_e32 v0, 0xffff, v0
	s_wait_loadcnt 0x0
	v_add_lshl_u32 v0, v1, v0, 4
	ds_store_b128 v0, v[24:27] offset:32
	ds_store_b128 v0, v[32:35] offset:48
	;; [unrolled: 1-line block ×10, first 2 shown]
	scratch_load_b128 v[1:4], off, off offset:28 ; 16-byte Folded Reload
	s_wait_loadcnt 0x0
	ds_store_b128 v0, v[1:4] offset:240
	ds_store_b128 v0, v[28:31] offset:208
	;; [unrolled: 1-line block ×5, first 2 shown]
	ds_store_b128 v0, v[12:15]
	scratch_load_b128 v[1:4], off, off offset:12 ; 16-byte Folded Reload
	s_wait_loadcnt 0x0
	ds_store_b128 v0, v[1:4] offset:256
.LBB0_7:
	s_or_b32 exec_lo, exec_lo, s33
	scratch_load_b32 v176, off, off         ; 4-byte Folded Reload
	s_load_b128 s[4:7], s[4:5], 0x0
	s_mov_b32 s28, 0x42a4c3d2
	s_mov_b32 s26, 0x66966769
	;; [unrolled: 1-line block ×25, first 2 shown]
	s_wait_alu 0xfffe
	s_mov_b32 s36, s22
	s_mov_b32 s39, 0x3fefc445
	;; [unrolled: 1-line block ×5, first 2 shown]
	s_wait_loadcnt 0x0
	v_and_b32_e32 v0, 0xff, v176
	s_delay_alu instid0(VALU_DEP_1) | instskip(NEXT) | instid1(VALU_DEP_1)
	v_mul_lo_u16 v0, 0xf1, v0
	v_lshrrev_b16 v0, 12, v0
	scratch_store_b32 off, v0, off offset:52 ; 4-byte Folded Spill
	v_mul_lo_u16 v0, v0, 17
	s_delay_alu instid0(VALU_DEP_1) | instskip(NEXT) | instid1(VALU_DEP_1)
	v_sub_nc_u16 v0, v176, v0
	v_and_b32_e32 v0, 0xff, v0
	scratch_store_b32 off, v0, off offset:68 ; 4-byte Folded Spill
	v_mul_u32_u24_e32 v0, 12, v0
	global_wb scope:SCOPE_SE
	s_wait_storecnt_dscnt 0x0
	s_wait_kmcnt 0x0
	s_barrier_signal -1
	s_barrier_wait -1
	global_inv scope:SCOPE_SE
	v_lshlrev_b32_e32 v32, 4, v0
	s_clause 0x2
	global_load_b128 v[0:3], v32, s[2:3]
	global_load_b128 v[4:7], v32, s[2:3] offset:176
	global_load_b128 v[8:11], v32, s[2:3] offset:16
	scratch_load_b32 v254, off, off offset:4 ; 4-byte Folded Reload
	s_wait_loadcnt 0x3
	scratch_store_b128 off, v[0:3], off offset:84 ; 16-byte Folded Spill
	s_wait_loadcnt 0x2
	scratch_store_b128 off, v[4:7], off offset:100 ; 16-byte Folded Spill
	s_wait_loadcnt 0x0
	v_add_lshl_u32 v243, v254, v176, 4
	ds_load_b128 v[20:23], v243 offset:1360
	ds_load_b128 v[44:47], v243 offset:4080
	;; [unrolled: 1-line block ×9, first 2 shown]
	s_wait_dscnt 0x8
	v_mul_f64_e32 v[33:34], v[22:23], v[2:3]
	v_mul_f64_e32 v[35:36], v[20:21], v[2:3]
	s_wait_dscnt 0x6
	v_mul_f64_e32 v[39:40], v[26:27], v[6:7]
	v_mul_f64_e32 v[37:38], v[24:25], v[6:7]
	s_delay_alu instid0(VALU_DEP_4) | instskip(NEXT) | instid1(VALU_DEP_4)
	v_fma_f64 v[108:109], v[20:21], v[0:1], -v[33:34]
	v_fma_f64 v[110:111], v[22:23], v[0:1], v[35:36]
	global_load_b128 v[0:3], v32, s[2:3] offset:160
	ds_load_b128 v[33:36], v243 offset:2720
	v_fma_f64 v[22:23], v[24:25], v[4:5], -v[39:40]
	v_fma_f64 v[20:21], v[26:27], v[4:5], v[37:38]
	scratch_store_b128 off, v[8:11], off offset:116 ; 16-byte Folded Spill
	s_wait_dscnt 0x0
	v_mul_f64_e32 v[41:42], v[35:36], v[10:11]
	v_mul_f64_e32 v[24:25], v[33:34], v[10:11]
	v_add_f64_e32 v[124:125], v[108:109], v[22:23]
	v_add_f64_e32 v[130:131], v[110:111], v[20:21]
	s_delay_alu instid0(VALU_DEP_4)
	v_fma_f64 v[60:61], v[33:34], v[8:9], -v[41:42]
	ds_load_b128 v[40:43], v243 offset:14960
	v_fma_f64 v[62:63], v[35:36], v[8:9], v[24:25]
	s_wait_loadcnt_dscnt 0x0
	v_mul_f64_e32 v[24:25], v[40:41], v[2:3]
	v_mul_f64_e32 v[26:27], v[42:43], v[2:3]
	scratch_store_b128 off, v[0:3], off offset:132 ; 16-byte Folded Spill
	v_fma_f64 v[24:25], v[42:43], v[0:1], v[24:25]
	v_fma_f64 v[26:27], v[40:41], v[0:1], -v[26:27]
	global_load_b128 v[0:3], v32, s[2:3] offset:32
	s_wait_loadcnt 0x0
	v_mul_f64_e32 v[33:34], v[46:47], v[2:3]
	scratch_store_b128 off, v[0:3], off offset:148 ; 16-byte Folded Spill
	v_fma_f64 v[68:69], v[44:45], v[0:1], -v[33:34]
	v_mul_f64_e32 v[33:34], v[44:45], v[2:3]
	s_delay_alu instid0(VALU_DEP_1)
	v_fma_f64 v[70:71], v[46:47], v[0:1], v[33:34]
	global_load_b128 v[0:3], v32, s[2:3] offset:144
	s_wait_loadcnt 0x0
	v_mul_f64_e32 v[33:34], v[48:49], v[2:3]
	scratch_store_b128 off, v[0:3], off offset:164 ; 16-byte Folded Spill
	v_fma_f64 v[64:65], v[50:51], v[0:1], v[33:34]
	v_mul_f64_e32 v[33:34], v[50:51], v[2:3]
	s_delay_alu instid0(VALU_DEP_1) | instskip(SKIP_2) | instid1(VALU_DEP_1)
	v_fma_f64 v[66:67], v[48:49], v[0:1], -v[33:34]
	global_load_b128 v[0:3], v32, s[2:3] offset:48
	v_add_f64_e64 v[189:190], v[68:69], -v[66:67]
	v_mul_f64_e32 v[191:192], s[20:21], v[189:190]
	s_wait_alu 0xfffe
	v_mul_f64_e32 v[233:234], s[40:41], v[189:190]
	s_wait_loadcnt 0x0
	v_mul_f64_e32 v[33:34], v[52:53], v[2:3]
	scratch_store_b128 off, v[0:3], off offset:180 ; 16-byte Folded Spill
	v_fma_f64 v[74:75], v[54:55], v[0:1], v[33:34]
	v_mul_f64_e32 v[33:34], v[54:55], v[2:3]
	s_delay_alu instid0(VALU_DEP_1)
	v_fma_f64 v[78:79], v[52:53], v[0:1], -v[33:34]
	global_load_b128 v[0:3], v32, s[2:3] offset:128
	s_wait_loadcnt 0x0
	v_mul_f64_e32 v[33:34], v[56:57], v[2:3]
	scratch_store_b128 off, v[0:3], off offset:196 ; 16-byte Folded Spill
	v_fma_f64 v[72:73], v[58:59], v[0:1], v[33:34]
	v_mul_f64_e32 v[33:34], v[58:59], v[2:3]
	s_delay_alu instid0(VALU_DEP_2) | instskip(NEXT) | instid1(VALU_DEP_2)
	v_add_f64_e64 v[193:194], v[74:75], -v[72:73]
	v_fma_f64 v[76:77], v[56:57], v[0:1], -v[33:34]
	global_load_b128 v[0:3], v32, s[2:3] offset:64
	v_add_f64_e32 v[199:200], v[74:75], v[72:73]
	v_mul_f64_e32 v[195:196], s[36:37], v[193:194]
	v_add_f64_e64 v[197:198], v[78:79], -v[76:77]
	s_delay_alu instid0(VALU_DEP_1)
	v_mul_f64_e32 v[201:202], s[36:37], v[197:198]
	s_wait_loadcnt 0x0
	v_mul_f64_e32 v[33:34], v[84:85], v[2:3]
	scratch_store_b128 off, v[0:3], off offset:212 ; 16-byte Folded Spill
	v_fma_f64 v[80:81], v[82:83], v[0:1], -v[33:34]
	v_mul_f64_e32 v[33:34], v[82:83], v[2:3]
	s_delay_alu instid0(VALU_DEP_1)
	v_fma_f64 v[82:83], v[84:85], v[0:1], v[33:34]
	global_load_b128 v[0:3], v32, s[2:3] offset:80
	s_wait_loadcnt 0x0
	v_mul_f64_e32 v[33:34], v[88:89], v[2:3]
	scratch_store_b128 off, v[0:3], off offset:340 ; 16-byte Folded Spill
	v_fma_f64 v[84:85], v[86:87], v[0:1], -v[33:34]
	v_mul_f64_e32 v[33:34], v[86:87], v[2:3]
	s_delay_alu instid0(VALU_DEP_1)
	v_fma_f64 v[86:87], v[88:89], v[0:1], v[33:34]
	global_load_b128 v[0:3], v32, s[2:3] offset:96
	s_wait_loadcnt 0x0
	v_mul_f64_e32 v[33:34], v[102:103], v[2:3]
	scratch_store_b128 off, v[0:3], off offset:324 ; 16-byte Folded Spill
	v_fma_f64 v[88:89], v[100:101], v[0:1], -v[33:34]
	v_mul_f64_e32 v[33:34], v[100:101], v[2:3]
	s_delay_alu instid0(VALU_DEP_2) | instskip(NEXT) | instid1(VALU_DEP_2)
	v_add_f64_e32 v[217:218], v[84:85], v[88:89]
	v_fma_f64 v[90:91], v[102:103], v[0:1], v[33:34]
	global_load_b128 v[100:103], v32, s[2:3] offset:112
	ds_load_b128 v[32:35], v243 offset:10880
	v_add_f64_e64 v[221:222], v[84:85], -v[88:89]
	v_mul_f64_e32 v[0:1], s[26:27], v[197:198]
	v_add_f64_e64 v[215:216], v[86:87], -v[90:91]
	v_add_f64_e32 v[223:224], v[86:87], v[90:91]
	s_delay_alu instid0(VALU_DEP_4) | instskip(NEXT) | instid1(VALU_DEP_4)
	v_mul_f64_e32 v[246:247], s[22:23], v[221:222]
	v_fma_f64 v[2:3], v[199:200], s[18:19], v[0:1]
	v_fma_f64 v[0:1], v[199:200], s[18:19], -v[0:1]
	v_mul_f64_e32 v[244:245], s[22:23], v[215:216]
	v_mul_f64_e32 v[44:45], s[24:25], v[215:216]
	;; [unrolled: 1-line block ×3, first 2 shown]
	s_delay_alu instid0(VALU_DEP_2) | instskip(NEXT) | instid1(VALU_DEP_2)
	v_fma_f64 v[46:47], v[217:218], s[14:15], -v[44:45]
	v_fma_f64 v[98:99], v[217:218], s[18:19], -v[96:97]
	s_wait_loadcnt_dscnt 0x0
	v_mul_f64_e32 v[112:113], v[34:35], v[102:103]
	s_delay_alu instid0(VALU_DEP_1) | instskip(SKIP_1) | instid1(VALU_DEP_2)
	v_fma_f64 v[112:113], v[32:33], v[100:101], -v[112:113]
	v_mul_f64_e32 v[32:33], v[32:33], v[102:103]
	v_add_f64_e32 v[205:206], v[80:81], v[112:113]
	s_delay_alu instid0(VALU_DEP_2) | instskip(SKIP_2) | instid1(VALU_DEP_3)
	v_fma_f64 v[114:115], v[34:35], v[100:101], v[32:33]
	v_add_f64_e64 v[32:33], v[110:111], -v[20:21]
	v_add_f64_e64 v[209:210], v[80:81], -v[112:113]
	;; [unrolled: 1-line block ×3, first 2 shown]
	s_delay_alu instid0(VALU_DEP_3)
	v_mul_f64_e32 v[34:35], s[34:35], v[32:33]
	v_mul_f64_e32 v[116:117], s[28:29], v[32:33]
	;; [unrolled: 1-line block ×6, first 2 shown]
	v_add_f64_e32 v[211:212], v[82:83], v[114:115]
	v_mul_f64_e32 v[213:214], s[38:39], v[209:210]
	v_mul_f64_e32 v[241:242], s[28:29], v[209:210]
	v_mul_f64_e32 v[207:208], s[38:39], v[203:204]
	v_fma_f64 v[126:127], v[124:125], s[30:31], -v[34:35]
	v_fma_f64 v[34:35], v[124:125], s[30:31], v[34:35]
	v_fma_f64 v[134:135], v[124:125], s[16:17], -v[116:117]
	v_fma_f64 v[136:137], v[124:125], s[16:17], v[116:117]
	v_fma_f64 v[138:139], v[124:125], s[18:19], -v[118:119]
	v_fma_f64 v[140:141], v[124:125], s[18:19], v[118:119]
	v_fma_f64 v[142:143], v[124:125], s[14:15], -v[120:121]
	v_fma_f64 v[144:145], v[124:125], s[14:15], v[120:121]
	v_fma_f64 v[146:147], v[124:125], s[10:11], -v[122:123]
	v_fma_f64 v[148:149], v[124:125], s[10:11], v[122:123]
	v_fma_f64 v[150:151], v[124:125], s[0:1], -v[32:33]
	v_fma_f64 v[124:125], v[124:125], s[0:1], v[32:33]
	v_add_f64_e64 v[32:33], v[108:109], -v[22:23]
	v_mul_f64_e32 v[239:240], s[28:29], v[203:204]
	v_mul_f64_e32 v[92:93], s[24:25], v[203:204]
	s_delay_alu instid0(VALU_DEP_3)
	v_mul_f64_e32 v[116:117], s[34:35], v[32:33]
	v_mul_f64_e32 v[118:119], s[28:29], v[32:33]
	;; [unrolled: 1-line block ×6, first 2 shown]
	s_mov_b32 s35, 0x3fddbe06
	v_fma_f64 v[94:95], v[205:206], s[14:15], -v[92:93]
	s_wait_alu 0xfffe
	v_mul_f64_e32 v[219:220], s[34:35], v[215:216]
	v_mul_f64_e32 v[225:226], s[34:35], v[221:222]
	;; [unrolled: 1-line block ×5, first 2 shown]
	v_fma_f64 v[152:153], v[130:131], s[30:31], v[116:117]
	v_fma_f64 v[156:157], v[130:131], s[16:17], v[118:119]
	;; [unrolled: 1-line block ×3, first 2 shown]
	v_fma_f64 v[154:155], v[130:131], s[30:31], -v[116:117]
	v_fma_f64 v[158:159], v[130:131], s[16:17], -v[118:119]
	;; [unrolled: 1-line block ×3, first 2 shown]
	v_fma_f64 v[164:165], v[130:131], s[14:15], v[122:123]
	v_fma_f64 v[166:167], v[130:131], s[14:15], -v[122:123]
	v_fma_f64 v[172:173], v[130:131], s[10:11], v[128:129]
	v_fma_f64 v[174:175], v[130:131], s[10:11], -v[128:129]
	;; [unrolled: 2-line block ×3, first 2 shown]
	ds_load_b128 v[130:133], v243
	v_fma_f64 v[42:43], v[205:206], s[30:31], -v[40:41]
	s_wait_dscnt 0x0
	v_add_f64_e32 v[116:117], v[130:131], v[108:109]
	v_add_f64_e32 v[118:119], v[132:133], v[110:111]
	;; [unrolled: 1-line block ×17, first 2 shown]
	v_add_f64_e64 v[130:131], v[62:63], -v[24:25]
	v_add_f64_e32 v[124:125], v[60:61], v[26:27]
	v_add_f64_e32 v[122:123], v[132:133], v[154:155]
	;; [unrolled: 1-line block ×10, first 2 shown]
	v_add_f64_e64 v[142:143], v[60:61], -v[26:27]
	v_add_f64_e64 v[144:145], v[70:71], -v[64:65]
	v_mul_f64_e32 v[136:137], s[24:25], v[130:131]
	v_mul_f64_e32 v[227:228], s[20:21], v[130:131]
	;; [unrolled: 1-line block ×6, first 2 shown]
	s_mov_b32 s41, 0x3fea55e2
	s_mov_b32 s40, s28
	v_mul_f64_e32 v[16:17], s[28:29], v[144:145]
	s_wait_alu 0xfffe
	v_mul_f64_e32 v[8:9], s[40:41], v[215:216]
	v_mul_f64_e32 v[12:13], s[38:39], v[142:143]
	;; [unrolled: 1-line block ×5, first 2 shown]
	v_fma_f64 v[132:133], v[124:125], s[14:15], -v[136:137]
	v_fma_f64 v[10:11], v[217:218], s[16:17], -v[8:9]
	s_delay_alu instid0(VALU_DEP_2) | instskip(SKIP_1) | instid1(VALU_DEP_1)
	v_add_f64_e32 v[162:163], v[132:133], v[134:135]
	v_add_f64_e32 v[132:133], v[62:63], v[24:25]
	v_fma_f64 v[134:135], v[132:133], s[14:15], v[150:151]
	v_fma_f64 v[179:180], v[132:133], s[0:1], v[229:230]
	v_fma_f64 v[14:15], v[132:133], s[18:19], v[12:13]
	v_fma_f64 v[50:51], v[132:133], s[30:31], v[48:49]
	v_fma_f64 v[48:49], v[132:133], s[30:31], -v[48:49]
	v_fma_f64 v[12:13], v[132:133], s[18:19], -v[12:13]
	v_add_f64_e32 v[164:165], v[134:135], v[152:153]
	v_add_f64_e32 v[134:135], v[68:69], v[66:67]
	v_mul_f64_e32 v[152:153], s[20:21], v[144:145]
	v_add_f64_e32 v[179:180], v[179:180], v[183:184]
	v_add_f64_e32 v[14:15], v[14:15], v[166:167]
	;; [unrolled: 1-line block ×5, first 2 shown]
	v_fma_f64 v[18:19], v[134:135], s[16:17], -v[16:17]
	v_fma_f64 v[172:173], v[134:135], s[0:1], -v[152:153]
	;; [unrolled: 1-line block ×3, first 2 shown]
	s_delay_alu instid0(VALU_DEP_2) | instskip(SKIP_1) | instid1(VALU_DEP_1)
	v_add_f64_e32 v[172:173], v[172:173], v[162:163]
	v_add_f64_e32 v[162:163], v[70:71], v[64:65]
	v_fma_f64 v[174:175], v[162:163], s[0:1], v[191:192]
	s_delay_alu instid0(VALU_DEP_1) | instskip(SKIP_1) | instid1(VALU_DEP_1)
	v_add_f64_e32 v[174:175], v[174:175], v[164:165]
	v_add_f64_e32 v[164:165], v[78:79], v[76:77]
	v_fma_f64 v[177:178], v[164:165], s[10:11], -v[195:196]
	v_fma_f64 v[58:59], v[164:165], s[16:17], -v[56:57]
	s_delay_alu instid0(VALU_DEP_2) | instskip(SKIP_1) | instid1(VALU_DEP_1)
	v_add_f64_e32 v[172:173], v[177:178], v[172:173]
	v_fma_f64 v[177:178], v[199:200], s[10:11], v[201:202]
	v_add_f64_e32 v[174:175], v[177:178], v[174:175]
	v_fma_f64 v[177:178], v[205:206], s[18:19], -v[207:208]
	s_delay_alu instid0(VALU_DEP_1) | instskip(SKIP_1) | instid1(VALU_DEP_1)
	v_add_f64_e32 v[172:173], v[177:178], v[172:173]
	v_fma_f64 v[177:178], v[211:212], s[18:19], v[213:214]
	v_add_f64_e32 v[174:175], v[177:178], v[174:175]
	v_fma_f64 v[177:178], v[217:218], s[30:31], -v[219:220]
	s_delay_alu instid0(VALU_DEP_1) | instskip(SKIP_1) | instid1(VALU_DEP_1)
	;; [unrolled: 5-line block ×3, first 2 shown]
	v_add_f64_e32 v[177:178], v[177:178], v[181:182]
	v_fma_f64 v[181:182], v[134:135], s[14:15], -v[231:232]
	v_add_f64_e32 v[177:178], v[181:182], v[177:178]
	v_fma_f64 v[181:182], v[162:163], s[14:15], v[233:234]
	s_delay_alu instid0(VALU_DEP_1) | instskip(SKIP_1) | instid1(VALU_DEP_1)
	v_add_f64_e32 v[179:180], v[181:182], v[179:180]
	v_fma_f64 v[181:182], v[164:165], s[30:31], -v[235:236]
	v_add_f64_e32 v[177:178], v[181:182], v[177:178]
	v_fma_f64 v[181:182], v[199:200], s[30:31], v[237:238]
	s_delay_alu instid0(VALU_DEP_1) | instskip(SKIP_1) | instid1(VALU_DEP_1)
	;; [unrolled: 5-line block ×4, first 2 shown]
	v_add_f64_e32 v[179:180], v[181:182], v[179:180]
	v_fma_f64 v[181:182], v[124:125], s[10:11], -v[248:249]
	v_add_f64_e32 v[181:182], v[181:182], v[185:186]
	v_mul_f64_e32 v[185:186], s[36:37], v[142:143]
	s_mov_b32 s37, 0x3fcea1e5
	s_mov_b32 s36, s20
	s_wait_alu 0xfffe
	v_mul_f64_e32 v[4:5], s[36:37], v[203:204]
	v_mul_f64_e32 v[36:37], s[36:37], v[193:194]
	s_delay_alu instid0(VALU_DEP_3) | instskip(NEXT) | instid1(VALU_DEP_3)
	v_fma_f64 v[183:184], v[132:133], s[10:11], v[185:186]
	v_fma_f64 v[6:7], v[205:206], s[0:1], -v[4:5]
	s_delay_alu instid0(VALU_DEP_3) | instskip(SKIP_1) | instid1(VALU_DEP_4)
	v_fma_f64 v[38:39], v[164:165], s[0:1], -v[36:37]
	v_fma_f64 v[4:5], v[205:206], s[0:1], v[4:5]
	v_add_f64_e32 v[183:184], v[183:184], v[187:188]
	v_mul_f64_e32 v[187:188], s[34:35], v[144:145]
	s_delay_alu instid0(VALU_DEP_1) | instskip(NEXT) | instid1(VALU_DEP_1)
	v_fma_f64 v[250:251], v[134:135], s[30:31], -v[187:188]
	v_add_f64_e32 v[181:182], v[250:251], v[181:182]
	v_mul_f64_e32 v[250:251], s[34:35], v[189:190]
	s_delay_alu instid0(VALU_DEP_1) | instskip(NEXT) | instid1(VALU_DEP_1)
	v_fma_f64 v[252:253], v[162:163], s[30:31], v[250:251]
	v_add_f64_e32 v[183:184], v[252:253], v[183:184]
	v_mul_f64_e32 v[252:253], s[26:27], v[193:194]
	s_delay_alu instid0(VALU_DEP_2) | instskip(NEXT) | instid1(VALU_DEP_2)
	v_add_f64_e32 v[2:3], v[2:3], v[183:184]
	v_fma_f64 v[170:171], v[164:165], s[18:19], -v[252:253]
	s_delay_alu instid0(VALU_DEP_1) | instskip(NEXT) | instid1(VALU_DEP_1)
	v_add_f64_e32 v[170:171], v[170:171], v[181:182]
	v_add_f64_e32 v[6:7], v[6:7], v[170:171]
	v_mul_f64_e32 v[170:171], s[36:37], v[209:210]
	s_delay_alu instid0(VALU_DEP_1) | instskip(NEXT) | instid1(VALU_DEP_1)
	v_fma_f64 v[181:182], v[211:212], s[0:1], v[170:171]
	v_add_f64_e32 v[2:3], v[181:182], v[2:3]
	s_delay_alu instid0(VALU_DEP_4) | instskip(SKIP_1) | instid1(VALU_DEP_1)
	v_add_f64_e32 v[181:182], v[10:11], v[6:7]
	v_mul_f64_e32 v[6:7], s[40:41], v[221:222]
	v_fma_f64 v[10:11], v[223:224], s[16:17], v[6:7]
	v_fma_f64 v[6:7], v[223:224], s[16:17], -v[6:7]
	s_delay_alu instid0(VALU_DEP_2) | instskip(SKIP_1) | instid1(VALU_DEP_1)
	v_add_f64_e32 v[183:184], v[10:11], v[2:3]
	v_mul_f64_e32 v[2:3], s[38:39], v[130:131]
	v_fma_f64 v[10:11], v[124:125], s[18:19], -v[2:3]
	v_fma_f64 v[2:3], v[124:125], s[18:19], v[2:3]
	s_delay_alu instid0(VALU_DEP_2) | instskip(NEXT) | instid1(VALU_DEP_2)
	v_add_f64_e32 v[10:11], v[10:11], v[168:169]
	v_add_f64_e32 v[2:3], v[2:3], v[148:149]
	s_delay_alu instid0(VALU_DEP_2) | instskip(SKIP_1) | instid1(VALU_DEP_2)
	v_add_f64_e32 v[10:11], v[18:19], v[10:11]
	v_mul_f64_e32 v[18:19], s[28:29], v[189:190]
	v_add_f64_e32 v[10:11], v[38:39], v[10:11]
	s_delay_alu instid0(VALU_DEP_2) | instskip(SKIP_1) | instid1(VALU_DEP_3)
	v_fma_f64 v[166:167], v[162:163], s[16:17], v[18:19]
	v_mul_f64_e32 v[38:39], s[36:37], v[197:198]
	v_add_f64_e32 v[10:11], v[42:43], v[10:11]
	s_delay_alu instid0(VALU_DEP_3) | instskip(NEXT) | instid1(VALU_DEP_3)
	v_add_f64_e32 v[14:15], v[166:167], v[14:15]
	v_fma_f64 v[166:167], v[199:200], s[0:1], v[38:39]
	v_mul_f64_e32 v[42:43], s[34:35], v[209:210]
	s_delay_alu instid0(VALU_DEP_2) | instskip(NEXT) | instid1(VALU_DEP_2)
	v_add_f64_e32 v[14:15], v[166:167], v[14:15]
	v_fma_f64 v[166:167], v[211:212], s[30:31], v[42:43]
	s_delay_alu instid0(VALU_DEP_1) | instskip(SKIP_2) | instid1(VALU_DEP_1)
	v_add_f64_e32 v[14:15], v[166:167], v[14:15]
	v_add_f64_e32 v[166:167], v[46:47], v[10:11]
	v_mul_f64_e32 v[10:11], s[24:25], v[221:222]
	v_fma_f64 v[46:47], v[223:224], s[14:15], v[10:11]
	v_fma_f64 v[10:11], v[223:224], s[14:15], -v[10:11]
	s_delay_alu instid0(VALU_DEP_2) | instskip(SKIP_1) | instid1(VALU_DEP_1)
	v_add_f64_e32 v[168:169], v[46:47], v[14:15]
	v_mul_f64_e32 v[14:15], s[34:35], v[130:131]
	v_fma_f64 v[46:47], v[124:125], s[30:31], -v[14:15]
	v_fma_f64 v[14:15], v[124:125], s[30:31], v[14:15]
	s_delay_alu instid0(VALU_DEP_2) | instskip(NEXT) | instid1(VALU_DEP_2)
	v_add_f64_e32 v[46:47], v[46:47], v[160:161]
	v_add_f64_e32 v[14:15], v[14:15], v[156:157]
	s_delay_alu instid0(VALU_DEP_2) | instskip(SKIP_1) | instid1(VALU_DEP_2)
	v_add_f64_e32 v[46:47], v[54:55], v[46:47]
	v_mul_f64_e32 v[54:55], s[22:23], v[189:190]
	v_add_f64_e32 v[46:47], v[58:59], v[46:47]
	s_delay_alu instid0(VALU_DEP_2) | instskip(SKIP_1) | instid1(VALU_DEP_3)
	v_fma_f64 v[158:159], v[162:163], s[10:11], v[54:55]
	v_mul_f64_e32 v[58:59], s[40:41], v[197:198]
	v_add_f64_e32 v[46:47], v[94:95], v[46:47]
	s_delay_alu instid0(VALU_DEP_3) | instskip(NEXT) | instid1(VALU_DEP_3)
	v_add_f64_e32 v[50:51], v[158:159], v[50:51]
	v_fma_f64 v[158:159], v[199:200], s[16:17], v[58:59]
	v_mul_f64_e32 v[94:95], s[24:25], v[209:210]
	s_delay_alu instid0(VALU_DEP_2) | instskip(NEXT) | instid1(VALU_DEP_2)
	v_add_f64_e32 v[50:51], v[158:159], v[50:51]
	v_fma_f64 v[158:159], v[211:212], s[14:15], v[94:95]
	s_delay_alu instid0(VALU_DEP_1) | instskip(SKIP_2) | instid1(VALU_DEP_1)
	v_add_f64_e32 v[50:51], v[158:159], v[50:51]
	v_add_f64_e32 v[158:159], v[98:99], v[46:47]
	v_mul_f64_e32 v[46:47], s[38:39], v[221:222]
	v_fma_f64 v[98:99], v[223:224], s[18:19], v[46:47]
	v_fma_f64 v[46:47], v[223:224], s[18:19], -v[46:47]
	s_delay_alu instid0(VALU_DEP_2) | instskip(SKIP_1) | instid1(VALU_DEP_1)
	v_add_f64_e32 v[160:161], v[98:99], v[50:51]
	v_fma_f64 v[50:51], v[134:135], s[10:11], v[52:53]
	v_add_f64_e32 v[14:15], v[50:51], v[14:15]
	v_fma_f64 v[50:51], v[162:163], s[10:11], -v[54:55]
	s_delay_alu instid0(VALU_DEP_1) | instskip(SKIP_1) | instid1(VALU_DEP_1)
	v_add_f64_e32 v[48:49], v[50:51], v[48:49]
	v_fma_f64 v[50:51], v[164:165], s[16:17], v[56:57]
	v_add_f64_e32 v[14:15], v[50:51], v[14:15]
	v_fma_f64 v[50:51], v[199:200], s[16:17], -v[58:59]
	s_delay_alu instid0(VALU_DEP_1) | instskip(SKIP_1) | instid1(VALU_DEP_1)
	v_add_f64_e32 v[48:49], v[50:51], v[48:49]
	v_fma_f64 v[50:51], v[205:206], s[14:15], v[92:93]
	v_add_f64_e32 v[14:15], v[50:51], v[14:15]
	v_fma_f64 v[50:51], v[211:212], s[14:15], -v[94:95]
	s_delay_alu instid0(VALU_DEP_1) | instskip(SKIP_1) | instid1(VALU_DEP_2)
	v_add_f64_e32 v[48:49], v[50:51], v[48:49]
	v_fma_f64 v[50:51], v[217:218], s[18:19], v[96:97]
	v_add_f64_e32 v[156:157], v[46:47], v[48:49]
	s_delay_alu instid0(VALU_DEP_2) | instskip(SKIP_1) | instid1(VALU_DEP_1)
	v_add_f64_e32 v[154:155], v[50:51], v[14:15]
	v_fma_f64 v[14:15], v[134:135], s[16:17], v[16:17]
	v_add_f64_e32 v[2:3], v[14:15], v[2:3]
	v_fma_f64 v[14:15], v[162:163], s[16:17], -v[18:19]
	s_delay_alu instid0(VALU_DEP_1) | instskip(SKIP_1) | instid1(VALU_DEP_1)
	v_add_f64_e32 v[12:13], v[14:15], v[12:13]
	v_fma_f64 v[14:15], v[164:165], s[0:1], v[36:37]
	v_add_f64_e32 v[2:3], v[14:15], v[2:3]
	v_fma_f64 v[14:15], v[199:200], s[0:1], -v[38:39]
	v_mul_f64_e32 v[38:39], s[20:21], v[221:222]
	s_delay_alu instid0(VALU_DEP_2) | instskip(SKIP_1) | instid1(VALU_DEP_1)
	v_add_f64_e32 v[12:13], v[14:15], v[12:13]
	v_fma_f64 v[14:15], v[205:206], s[30:31], v[40:41]
	v_add_f64_e32 v[2:3], v[14:15], v[2:3]
	v_fma_f64 v[14:15], v[211:212], s[30:31], -v[42:43]
	s_delay_alu instid0(VALU_DEP_1) | instskip(SKIP_1) | instid1(VALU_DEP_2)
	v_add_f64_e32 v[12:13], v[14:15], v[12:13]
	v_fma_f64 v[14:15], v[217:218], s[14:15], v[44:45]
	v_add_f64_e32 v[148:149], v[10:11], v[12:13]
	s_delay_alu instid0(VALU_DEP_2) | instskip(SKIP_3) | instid1(VALU_DEP_3)
	v_add_f64_e32 v[146:147], v[14:15], v[2:3]
	v_fma_f64 v[2:3], v[124:125], s[10:11], v[248:249]
	v_fma_f64 v[10:11], v[132:133], s[10:11], -v[185:186]
	v_fma_f64 v[12:13], v[134:135], s[30:31], v[187:188]
	v_add_f64_e32 v[2:3], v[2:3], v[140:141]
	s_delay_alu instid0(VALU_DEP_3) | instskip(NEXT) | instid1(VALU_DEP_2)
	v_add_f64_e32 v[10:11], v[10:11], v[138:139]
	v_add_f64_e32 v[2:3], v[12:13], v[2:3]
	v_fma_f64 v[12:13], v[162:163], s[30:31], -v[250:251]
	s_delay_alu instid0(VALU_DEP_1) | instskip(SKIP_1) | instid1(VALU_DEP_2)
	v_add_f64_e32 v[10:11], v[12:13], v[10:11]
	v_fma_f64 v[12:13], v[164:165], s[18:19], v[252:253]
	v_add_f64_e32 v[0:1], v[0:1], v[10:11]
	s_delay_alu instid0(VALU_DEP_2) | instskip(NEXT) | instid1(VALU_DEP_1)
	v_add_f64_e32 v[2:3], v[12:13], v[2:3]
	v_add_f64_e32 v[2:3], v[4:5], v[2:3]
	v_fma_f64 v[4:5], v[211:212], s[0:1], -v[170:171]
	s_delay_alu instid0(VALU_DEP_1) | instskip(SKIP_2) | instid1(VALU_DEP_3)
	v_add_f64_e32 v[0:1], v[4:5], v[0:1]
	v_fma_f64 v[4:5], v[217:218], s[16:17], v[8:9]
	v_mul_f64_e32 v[8:9], s[26:27], v[144:145]
	v_add_f64_e32 v[140:141], v[6:7], v[0:1]
	v_fma_f64 v[0:1], v[124:125], s[0:1], v[227:228]
	s_delay_alu instid0(VALU_DEP_4)
	v_add_f64_e32 v[138:139], v[4:5], v[2:3]
	v_fma_f64 v[2:3], v[132:133], s[0:1], -v[229:230]
	v_fma_f64 v[4:5], v[134:135], s[14:15], v[231:232]
	v_fma_f64 v[6:7], v[223:224], s[10:11], -v[246:247]
	v_fma_f64 v[10:11], v[134:135], s[18:19], -v[8:9]
	v_add_f64_e32 v[0:1], v[0:1], v[110:111]
	v_add_f64_e32 v[2:3], v[2:3], v[108:109]
	s_delay_alu instid0(VALU_DEP_2) | instskip(SKIP_1) | instid1(VALU_DEP_1)
	v_add_f64_e32 v[0:1], v[4:5], v[0:1]
	v_fma_f64 v[4:5], v[162:163], s[14:15], -v[233:234]
	v_add_f64_e32 v[2:3], v[4:5], v[2:3]
	v_fma_f64 v[4:5], v[164:165], s[30:31], v[235:236]
	s_delay_alu instid0(VALU_DEP_1) | instskip(SKIP_1) | instid1(VALU_DEP_1)
	v_add_f64_e32 v[0:1], v[4:5], v[0:1]
	v_fma_f64 v[4:5], v[199:200], s[30:31], -v[237:238]
	v_add_f64_e32 v[2:3], v[4:5], v[2:3]
	v_fma_f64 v[4:5], v[205:206], s[16:17], v[239:240]
	s_delay_alu instid0(VALU_DEP_1) | instskip(SKIP_1) | instid1(VALU_DEP_1)
	v_add_f64_e32 v[0:1], v[4:5], v[0:1]
	v_fma_f64 v[4:5], v[211:212], s[16:17], -v[241:242]
	v_add_f64_e32 v[2:3], v[4:5], v[2:3]
	v_fma_f64 v[4:5], v[217:218], s[10:11], v[244:245]
	s_delay_alu instid0(VALU_DEP_2) | instskip(NEXT) | instid1(VALU_DEP_2)
	v_add_f64_e32 v[110:111], v[6:7], v[2:3]
	v_add_f64_e32 v[108:109], v[4:5], v[0:1]
	v_fma_f64 v[0:1], v[124:125], s[14:15], v[136:137]
	v_fma_f64 v[2:3], v[132:133], s[14:15], -v[150:151]
	v_fma_f64 v[4:5], v[134:135], s[0:1], v[152:153]
	v_fma_f64 v[6:7], v[223:224], s[30:31], -v[225:226]
	s_delay_alu instid0(VALU_DEP_4) | instskip(NEXT) | instid1(VALU_DEP_4)
	v_add_f64_e32 v[0:1], v[0:1], v[34:35]
	v_add_f64_e32 v[2:3], v[2:3], v[32:33]
	s_delay_alu instid0(VALU_DEP_2) | instskip(SKIP_1) | instid1(VALU_DEP_1)
	v_add_f64_e32 v[0:1], v[4:5], v[0:1]
	v_fma_f64 v[4:5], v[162:163], s[0:1], -v[191:192]
	v_add_f64_e32 v[2:3], v[4:5], v[2:3]
	v_fma_f64 v[4:5], v[164:165], s[10:11], v[195:196]
	s_delay_alu instid0(VALU_DEP_1) | instskip(SKIP_1) | instid1(VALU_DEP_1)
	v_add_f64_e32 v[0:1], v[4:5], v[0:1]
	v_fma_f64 v[4:5], v[199:200], s[10:11], -v[201:202]
	v_add_f64_e32 v[2:3], v[4:5], v[2:3]
	v_fma_f64 v[4:5], v[205:206], s[18:19], v[207:208]
	s_delay_alu instid0(VALU_DEP_1) | instskip(SKIP_1) | instid1(VALU_DEP_1)
	v_add_f64_e32 v[0:1], v[4:5], v[0:1]
	v_fma_f64 v[4:5], v[211:212], s[18:19], -v[213:214]
	v_add_f64_e32 v[2:3], v[4:5], v[2:3]
	v_fma_f64 v[4:5], v[217:218], s[30:31], v[219:220]
	s_delay_alu instid0(VALU_DEP_2) | instskip(NEXT) | instid1(VALU_DEP_2)
	v_add_f64_e32 v[34:35], v[6:7], v[2:3]
	v_add_f64_e32 v[32:33], v[4:5], v[0:1]
	v_mul_f64_e32 v[0:1], s[28:29], v[130:131]
	v_mul_f64_e32 v[4:5], s[28:29], v[142:143]
	s_delay_alu instid0(VALU_DEP_2) | instskip(NEXT) | instid1(VALU_DEP_2)
	v_fma_f64 v[2:3], v[124:125], s[16:17], -v[0:1]
	v_fma_f64 v[6:7], v[132:133], s[16:17], v[4:5]
	v_fma_f64 v[0:1], v[124:125], s[16:17], v[0:1]
	s_delay_alu instid0(VALU_DEP_3) | instskip(NEXT) | instid1(VALU_DEP_3)
	v_add_f64_e32 v[2:3], v[2:3], v[128:129]
	v_add_f64_e32 v[6:7], v[6:7], v[126:127]
	s_delay_alu instid0(VALU_DEP_3) | instskip(NEXT) | instid1(VALU_DEP_3)
	v_add_f64_e32 v[0:1], v[0:1], v[120:121]
	v_add_f64_e32 v[2:3], v[10:11], v[2:3]
	v_mul_f64_e32 v[10:11], s[26:27], v[189:190]
	s_delay_alu instid0(VALU_DEP_1) | instskip(NEXT) | instid1(VALU_DEP_1)
	v_fma_f64 v[12:13], v[162:163], s[18:19], v[10:11]
	v_add_f64_e32 v[6:7], v[12:13], v[6:7]
	v_mul_f64_e32 v[12:13], s[24:25], v[193:194]
	s_delay_alu instid0(VALU_DEP_1) | instskip(NEXT) | instid1(VALU_DEP_1)
	v_fma_f64 v[14:15], v[164:165], s[14:15], -v[12:13]
	v_add_f64_e32 v[2:3], v[14:15], v[2:3]
	v_mul_f64_e32 v[14:15], s[24:25], v[197:198]
	s_delay_alu instid0(VALU_DEP_1) | instskip(NEXT) | instid1(VALU_DEP_1)
	v_fma_f64 v[16:17], v[199:200], s[14:15], v[14:15]
	v_add_f64_e32 v[6:7], v[16:17], v[6:7]
	v_mul_f64_e32 v[16:17], s[22:23], v[203:204]
	s_delay_alu instid0(VALU_DEP_1) | instskip(NEXT) | instid1(VALU_DEP_1)
	v_fma_f64 v[18:19], v[205:206], s[10:11], -v[16:17]
	v_add_f64_e32 v[2:3], v[18:19], v[2:3]
	v_mul_f64_e32 v[18:19], s[22:23], v[209:210]
	s_delay_alu instid0(VALU_DEP_1) | instskip(NEXT) | instid1(VALU_DEP_1)
	v_fma_f64 v[36:37], v[211:212], s[10:11], v[18:19]
	v_add_f64_e32 v[6:7], v[36:37], v[6:7]
	v_mul_f64_e32 v[36:37], s[20:21], v[215:216]
	s_delay_alu instid0(VALU_DEP_1) | instskip(NEXT) | instid1(VALU_DEP_1)
	v_fma_f64 v[40:41], v[217:218], s[0:1], -v[36:37]
	v_add_f64_e32 v[126:127], v[40:41], v[2:3]
	v_fma_f64 v[2:3], v[223:224], s[0:1], v[38:39]
	s_delay_alu instid0(VALU_DEP_1) | instskip(SKIP_2) | instid1(VALU_DEP_2)
	v_add_f64_e32 v[128:129], v[2:3], v[6:7]
	v_add_f64_e32 v[2:3], v[116:117], v[60:61]
	;; [unrolled: 1-line block ×4, first 2 shown]
	s_delay_alu instid0(VALU_DEP_2) | instskip(NEXT) | instid1(VALU_DEP_2)
	v_add_f64_e32 v[6:7], v[6:7], v[70:71]
	v_add_f64_e32 v[2:3], v[2:3], v[78:79]
	s_delay_alu instid0(VALU_DEP_2) | instskip(NEXT) | instid1(VALU_DEP_2)
	v_add_f64_e32 v[6:7], v[6:7], v[74:75]
	v_add_f64_e32 v[2:3], v[2:3], v[80:81]
	s_delay_alu instid0(VALU_DEP_2) | instskip(NEXT) | instid1(VALU_DEP_2)
	v_add_f64_e32 v[6:7], v[6:7], v[82:83]
	v_add_f64_e32 v[2:3], v[2:3], v[84:85]
	s_delay_alu instid0(VALU_DEP_2) | instskip(NEXT) | instid1(VALU_DEP_2)
	v_add_f64_e32 v[6:7], v[6:7], v[86:87]
	v_add_f64_e32 v[2:3], v[2:3], v[88:89]
	s_delay_alu instid0(VALU_DEP_2) | instskip(NEXT) | instid1(VALU_DEP_2)
	v_add_f64_e32 v[6:7], v[6:7], v[90:91]
	v_add_f64_e32 v[2:3], v[2:3], v[112:113]
	s_delay_alu instid0(VALU_DEP_2) | instskip(NEXT) | instid1(VALU_DEP_2)
	v_add_f64_e32 v[6:7], v[6:7], v[114:115]
	v_add_f64_e32 v[2:3], v[2:3], v[76:77]
	s_delay_alu instid0(VALU_DEP_2) | instskip(NEXT) | instid1(VALU_DEP_2)
	v_add_f64_e32 v[6:7], v[6:7], v[72:73]
	v_add_f64_e32 v[2:3], v[2:3], v[66:67]
	s_delay_alu instid0(VALU_DEP_2) | instskip(NEXT) | instid1(VALU_DEP_2)
	v_add_f64_e32 v[6:7], v[6:7], v[64:65]
	v_add_f64_e32 v[2:3], v[2:3], v[26:27]
	s_delay_alu instid0(VALU_DEP_2) | instskip(NEXT) | instid1(VALU_DEP_2)
	v_add_f64_e32 v[6:7], v[6:7], v[24:25]
	v_add_f64_e32 v[60:61], v[2:3], v[22:23]
	v_fma_f64 v[2:3], v[132:133], s[16:17], -v[4:5]
	v_fma_f64 v[4:5], v[134:135], s[18:19], v[8:9]
	v_fma_f64 v[8:9], v[164:165], s[14:15], v[12:13]
	v_add_f64_e32 v[62:63], v[6:7], v[20:21]
	v_fma_f64 v[6:7], v[162:163], s[18:19], -v[10:11]
	v_fma_f64 v[10:11], v[199:200], s[14:15], -v[14:15]
	v_add_f64_e32 v[2:3], v[2:3], v[122:123]
	v_add_f64_e32 v[0:1], v[4:5], v[0:1]
	v_fma_f64 v[4:5], v[205:206], s[10:11], v[16:17]
	s_delay_alu instid0(VALU_DEP_3) | instskip(NEXT) | instid1(VALU_DEP_3)
	v_add_f64_e32 v[2:3], v[6:7], v[2:3]
	v_add_f64_e32 v[0:1], v[8:9], v[0:1]
	v_fma_f64 v[8:9], v[217:218], s[0:1], v[36:37]
	v_fma_f64 v[6:7], v[211:212], s[10:11], -v[18:19]
	s_delay_alu instid0(VALU_DEP_4) | instskip(NEXT) | instid1(VALU_DEP_4)
	v_add_f64_e32 v[2:3], v[10:11], v[2:3]
	v_add_f64_e32 v[0:1], v[4:5], v[0:1]
	v_fma_f64 v[10:11], v[223:224], s[0:1], -v[38:39]
	v_cmp_gt_u16_e64 s0, 51, v176
	s_delay_alu instid0(VALU_DEP_4) | instskip(NEXT) | instid1(VALU_DEP_4)
	v_add_f64_e32 v[2:3], v[6:7], v[2:3]
	v_add_f64_e32 v[24:25], v[8:9], v[0:1]
	s_clause 0x1
	scratch_load_b32 v0, off, off offset:52 th:TH_LOAD_LU
	scratch_load_b32 v1, off, off offset:68 th:TH_LOAD_LU
	global_wb scope:SCOPE_SE
	s_wait_loadcnt 0x0
	s_wait_storecnt 0x0
	s_barrier_signal -1
	s_barrier_wait -1
	global_inv scope:SCOPE_SE
	v_add_f64_e32 v[26:27], v[10:11], v[2:3]
	v_and_b32_e32 v0, 0xffff, v0
	s_delay_alu instid0(VALU_DEP_1) | instskip(NEXT) | instid1(VALU_DEP_1)
	v_mul_u32_u24_e32 v0, 0xdd, v0
	v_add_nc_u32_e32 v0, v0, v1
	s_delay_alu instid0(VALU_DEP_1)
	v_add_lshl_u32 v244, v254, v0, 4
	ds_store_b128 v244, v[172:175] offset:544
	ds_store_b128 v244, v[177:180] offset:816
	;; [unrolled: 1-line block ×9, first 2 shown]
	ds_store_b128 v244, v[60:63]
	ds_store_b128 v244, v[108:111] offset:2720
	ds_store_b128 v244, v[32:35] offset:2992
	;; [unrolled: 1-line block ×3, first 2 shown]
	global_wb scope:SCOPE_SE
	s_wait_dscnt 0x0
	s_barrier_signal -1
	s_barrier_wait -1
	global_inv scope:SCOPE_SE
	ds_load_b128 v[112:115], v243
	ds_load_b128 v[116:119], v243 offset:1360
	ds_load_b128 v[64:67], v243 offset:3536
	;; [unrolled: 1-line block ×9, first 2 shown]
	s_and_saveexec_b32 s1, s0
	s_cbranch_execz .LBB0_9
; %bb.8:
	ds_load_b128 v[108:111], v243 offset:2720
	ds_load_b128 v[32:35], v243 offset:6256
	ds_load_b128 v[24:27], v243 offset:9792
	ds_load_b128 v[28:31], v243 offset:13328
	ds_load_b128 v[104:107], v243 offset:16864
.LBB0_9:
	s_wait_alu 0xfffe
	s_or_b32 exec_lo, exec_lo, s1
	scratch_load_b32 v60, off, off          ; 4-byte Folded Reload
	s_mov_b32 s14, 0x134454ff
	s_mov_b32 s15, 0x3fee6f0e
	;; [unrolled: 1-line block ×3, first 2 shown]
	s_wait_alu 0xfffe
	s_mov_b32 s16, s14
	s_mov_b32 s11, 0xbfe2cf23
	;; [unrolled: 1-line block ×4, first 2 shown]
	s_wait_loadcnt 0x0
	v_lshlrev_b32_e32 v16, 6, v60
	s_clause 0x3
	global_load_b128 v[4:7], v16, s[2:3] offset:3264
	global_load_b128 v[8:11], v16, s[2:3] offset:3280
	;; [unrolled: 1-line block ×4, first 2 shown]
	v_add_nc_u32_e32 v42, 0x1540, v16
	s_clause 0x1
	global_load_b128 v[43:46], v42, s[2:3] offset:3296
	global_load_b128 v[88:91], v42, s[2:3] offset:3312
	s_wait_loadcnt_dscnt 0x507
	v_mul_f64_e32 v[0:1], v[66:67], v[6:7]
	v_mul_f64_e32 v[2:3], v[64:65], v[6:7]
	scratch_store_b128 off, v[4:7], off offset:228 ; 16-byte Folded Spill
	s_wait_loadcnt 0x4
	scratch_store_b128 off, v[8:11], off offset:244 ; 16-byte Folded Spill
	s_wait_dscnt 0x5
	v_mul_f64_e32 v[6:7], v[68:69], v[10:11]
	s_wait_loadcnt 0x3
	scratch_store_b128 off, v[12:15], off offset:260 ; 16-byte Folded Spill
	s_wait_loadcnt 0x2
	scratch_store_b128 off, v[36:39], off offset:292 ; 16-byte Folded Spill
	s_wait_loadcnt 0x1
	scratch_store_b128 off, v[43:46], off offset:308 ; 16-byte Folded Spill
	v_fma_f64 v[0:1], v[64:65], v[4:5], -v[0:1]
	v_fma_f64 v[2:3], v[66:67], v[4:5], v[2:3]
	v_mul_f64_e32 v[4:5], v[70:71], v[10:11]
	s_wait_dscnt 0x1
	v_mul_f64_e32 v[10:11], v[76:77], v[14:15]
	v_fma_f64 v[6:7], v[70:71], v[8:9], v[6:7]
	s_delay_alu instid0(VALU_DEP_3) | instskip(SKIP_1) | instid1(VALU_DEP_4)
	v_fma_f64 v[4:5], v[68:69], v[8:9], -v[4:5]
	v_mul_f64_e32 v[8:9], v[78:79], v[14:15]
	v_fma_f64 v[10:11], v[78:79], v[12:13], v[10:11]
	v_mul_f64_e32 v[14:15], v[72:73], v[38:39]
	s_delay_alu instid0(VALU_DEP_3) | instskip(SKIP_1) | instid1(VALU_DEP_3)
	v_fma_f64 v[8:9], v[76:77], v[12:13], -v[8:9]
	v_mul_f64_e32 v[12:13], v[74:75], v[38:39]
	v_fma_f64 v[14:15], v[74:75], v[36:37], v[14:15]
	s_delay_alu instid0(VALU_DEP_3) | instskip(NEXT) | instid1(VALU_DEP_3)
	v_add_f64_e64 v[54:55], v[0:1], -v[8:9]
	v_fma_f64 v[12:13], v[72:73], v[36:37], -v[12:13]
	global_load_b128 v[36:39], v42, s[2:3] offset:3280
	v_add_f64_e64 v[56:57], v[4:5], -v[12:13]
	s_wait_loadcnt 0x0
	v_mul_f64_e32 v[16:17], v[82:83], v[38:39]
	v_mul_f64_e32 v[18:19], v[80:81], v[38:39]
	scratch_store_b128 off, v[36:39], off offset:276 ; 16-byte Folded Spill
	v_mul_f64_e32 v[38:39], v[84:85], v[45:46]
	v_fma_f64 v[16:17], v[80:81], v[36:37], -v[16:17]
	v_fma_f64 v[18:19], v[82:83], v[36:37], v[18:19]
	v_mul_f64_e32 v[36:37], v[86:87], v[45:46]
	s_delay_alu instid0(VALU_DEP_4) | instskip(SKIP_3) | instid1(VALU_DEP_4)
	v_fma_f64 v[38:39], v[86:87], v[43:44], v[38:39]
	v_add_co_u32 v45, s10, 0xffffffcd, v60
	s_wait_alu 0xf1ff
	v_add_co_ci_u32_e64 v46, null, 0, -1, s10
	v_fma_f64 v[36:37], v[84:85], v[43:44], -v[36:37]
	global_load_b128 v[84:87], v42, s[2:3] offset:3264
	v_add_co_u32 v44, s1, 0xaa, v60
	s_wait_dscnt 0x0
	v_mul_f64_e32 v[42:43], v[120:121], v[90:91]
	s_delay_alu instid0(VALU_DEP_2) | instskip(SKIP_2) | instid1(VALU_DEP_1)
	v_cndmask_b32_e64 v44, v45, v44, s0
	s_wait_alu 0xf1ff
	v_add_co_ci_u32_e64 v45, null, 0, 0, s1
	v_cndmask_b32_e64 v45, v46, v45, s0
	s_delay_alu instid0(VALU_DEP_1) | instskip(NEXT) | instid1(VALU_DEP_1)
	v_lshlrev_b64_e32 v[44:45], 6, v[44:45]
	v_add_co_u32 v44, s1, s2, v44
	s_wait_alu 0xf1ff
	s_delay_alu instid0(VALU_DEP_2)
	v_add_co_ci_u32_e64 v45, s1, s3, v45, s1
	s_mov_b32 s2, 0x4755a5e
	s_mov_b32 s3, 0x3fe2cf23
	s_wait_alu 0xfffe
	s_mov_b32 s10, s2
	global_load_b128 v[48:51], v[44:45], off offset:3280
	v_fma_f64 v[42:43], v[122:123], v[88:89], v[42:43]
	s_wait_loadcnt 0x1
	v_mul_f64_e32 v[40:41], v[22:23], v[86:87]
	s_wait_loadcnt 0x0
	v_mul_f64_e32 v[46:47], v[26:27], v[50:51]
	scratch_store_b128 off, v[48:51], off offset:356 ; 16-byte Folded Spill
	v_fma_f64 v[40:41], v[20:21], v[84:85], -v[40:41]
	v_mul_f64_e32 v[20:21], v[20:21], v[86:87]
	s_delay_alu instid0(VALU_DEP_1) | instskip(SKIP_1) | instid1(VALU_DEP_1)
	v_fma_f64 v[20:21], v[22:23], v[84:85], v[20:21]
	v_mul_f64_e32 v[22:23], v[122:123], v[90:91]
	v_fma_f64 v[22:23], v[120:121], v[88:89], -v[22:23]
	v_fma_f64 v[120:121], v[24:25], v[48:49], -v[46:47]
	v_mul_f64_e32 v[24:25], v[24:25], v[50:51]
	v_add_f64_e64 v[50:51], v[6:7], -v[14:15]
	s_delay_alu instid0(VALU_DEP_2) | instskip(SKIP_3) | instid1(VALU_DEP_1)
	v_fma_f64 v[124:125], v[26:27], v[48:49], v[24:25]
	global_load_b128 v[46:49], v[44:45], off offset:3296
	s_wait_loadcnt 0x0
	v_mul_f64_e32 v[24:25], v[30:31], v[48:49]
	v_fma_f64 v[126:127], v[28:29], v[46:47], -v[24:25]
	v_mul_f64_e32 v[24:25], v[28:29], v[48:49]
	global_load_b128 v[26:29], v[44:45], off offset:3264
	scratch_store_b128 off, v[46:49], off offset:372 ; 16-byte Folded Spill
	v_add_f64_e64 v[48:49], v[2:3], -v[10:11]
	v_fma_f64 v[122:123], v[30:31], v[46:47], v[24:25]
	v_add_f64_e32 v[46:47], v[6:7], v[14:15]
	s_delay_alu instid0(VALU_DEP_1) | instskip(NEXT) | instid1(VALU_DEP_1)
	v_fma_f64 v[46:47], v[46:47], -0.5, v[114:115]
	v_fma_f64 v[58:59], v[54:55], s[16:17], v[46:47]
	v_fma_f64 v[46:47], v[54:55], s[14:15], v[46:47]
	s_wait_alu 0xfffe
	s_delay_alu instid0(VALU_DEP_2) | instskip(NEXT) | instid1(VALU_DEP_2)
	v_fma_f64 v[58:59], v[56:57], s[10:11], v[58:59]
	v_fma_f64 v[46:47], v[56:57], s[2:3], v[46:47]
	s_wait_loadcnt 0x0
	scratch_store_b128 off, v[26:29], off offset:388 ; 16-byte Folded Spill
	v_mul_f64_e32 v[24:25], v[34:35], v[28:29]
	s_delay_alu instid0(VALU_DEP_1) | instskip(SKIP_1) | instid1(VALU_DEP_1)
	v_fma_f64 v[172:173], v[32:33], v[26:27], -v[24:25]
	v_mul_f64_e32 v[24:25], v[32:33], v[28:29]
	v_fma_f64 v[154:155], v[34:35], v[26:27], v[24:25]
	global_load_b128 v[26:29], v[44:45], off offset:3312
	v_add_f64_e64 v[44:45], v[10:11], -v[14:15]
	s_wait_loadcnt 0x0
	v_mul_f64_e32 v[24:25], v[106:107], v[28:29]
	scratch_store_b128 off, v[26:29], off offset:404 ; 16-byte Folded Spill
	v_fma_f64 v[152:153], v[104:105], v[26:27], -v[24:25]
	v_mul_f64_e32 v[24:25], v[104:105], v[28:29]
	s_delay_alu instid0(VALU_DEP_1) | instskip(SKIP_2) | instid1(VALU_DEP_1)
	v_fma_f64 v[104:105], v[106:107], v[26:27], v[24:25]
	v_add_f64_e64 v[24:25], v[0:1], -v[4:5]
	v_add_f64_e64 v[26:27], v[8:9], -v[12:13]
	v_add_f64_e32 v[24:25], v[24:25], v[26:27]
	v_add_f64_e64 v[26:27], v[2:3], -v[6:7]
	s_delay_alu instid0(VALU_DEP_1) | instskip(SKIP_1) | instid1(VALU_DEP_2)
	v_add_f64_e32 v[26:27], v[26:27], v[44:45]
	v_add_f64_e32 v[44:45], v[4:5], v[12:13]
	v_fma_f64 v[138:139], v[26:27], s[18:19], v[46:47]
	s_delay_alu instid0(VALU_DEP_2)
	v_fma_f64 v[44:45], v[44:45], -0.5, v[112:113]
	v_add_f64_e32 v[46:47], v[114:115], v[2:3]
	v_fma_f64 v[134:135], v[26:27], s[18:19], v[58:59]
	v_add_f64_e32 v[26:27], v[2:3], v[10:11]
	v_add_f64_e64 v[2:3], v[6:7], -v[2:3]
	v_fma_f64 v[52:53], v[48:49], s[14:15], v[44:45]
	v_fma_f64 v[44:45], v[48:49], s[16:17], v[44:45]
	s_delay_alu instid0(VALU_DEP_4) | instskip(NEXT) | instid1(VALU_DEP_3)
	v_fma_f64 v[26:27], v[26:27], -0.5, v[114:115]
	v_fma_f64 v[52:53], v[50:51], s[2:3], v[52:53]
	s_delay_alu instid0(VALU_DEP_3) | instskip(NEXT) | instid1(VALU_DEP_2)
	v_fma_f64 v[44:45], v[50:51], s[10:11], v[44:45]
	v_fma_f64 v[132:133], v[24:25], s[18:19], v[52:53]
	s_delay_alu instid0(VALU_DEP_2) | instskip(SKIP_3) | instid1(VALU_DEP_3)
	v_fma_f64 v[136:137], v[24:25], s[18:19], v[44:45]
	v_add_f64_e32 v[44:45], v[112:113], v[0:1]
	v_add_f64_e32 v[24:25], v[0:1], v[8:9]
	v_add_f64_e64 v[0:1], v[4:5], -v[0:1]
	v_add_f64_e32 v[4:5], v[44:45], v[4:5]
	v_add_f64_e32 v[44:45], v[46:47], v[6:7]
	s_delay_alu instid0(VALU_DEP_4) | instskip(NEXT) | instid1(VALU_DEP_3)
	v_fma_f64 v[24:25], v[24:25], -0.5, v[112:113]
	v_add_f64_e32 v[4:5], v[4:5], v[12:13]
	s_delay_alu instid0(VALU_DEP_3) | instskip(SKIP_1) | instid1(VALU_DEP_3)
	v_add_f64_e32 v[6:7], v[44:45], v[14:15]
	v_add_f64_e64 v[12:13], v[12:13], -v[8:9]
	v_add_f64_e32 v[112:113], v[4:5], v[8:9]
	s_delay_alu instid0(VALU_DEP_3)
	v_add_f64_e32 v[114:115], v[6:7], v[10:11]
	v_add_f64_e64 v[4:5], v[14:15], -v[10:11]
	v_fma_f64 v[6:7], v[50:51], s[16:17], v[24:25]
	v_fma_f64 v[8:9], v[50:51], s[14:15], v[24:25]
	;; [unrolled: 1-line block ×4, first 2 shown]
	v_add_f64_e32 v[0:1], v[0:1], v[12:13]
	v_add_f64_e64 v[24:25], v[16:17], -v[36:37]
	v_add_f64_e32 v[2:3], v[2:3], v[4:5]
	v_fma_f64 v[4:5], v[48:49], s[2:3], v[6:7]
	v_fma_f64 v[6:7], v[48:49], s[10:11], v[8:9]
	;; [unrolled: 1-line block ×4, first 2 shown]
	v_add_f64_e64 v[14:15], v[40:41], -v[22:23]
	v_fma_f64 v[144:145], v[0:1], s[18:19], v[4:5]
	v_fma_f64 v[148:149], v[0:1], s[18:19], v[6:7]
	;; [unrolled: 1-line block ×4, first 2 shown]
	v_add_f64_e64 v[0:1], v[40:41], -v[16:17]
	v_add_f64_e64 v[2:3], v[22:23], -v[36:37]
	;; [unrolled: 1-line block ×3, first 2 shown]
	v_add_f64_e32 v[6:7], v[18:19], v[38:39]
	v_add_f64_e64 v[8:9], v[20:21], -v[42:43]
	v_add_f64_e64 v[10:11], v[18:19], -v[38:39]
	v_add_f64_e32 v[0:1], v[0:1], v[2:3]
	v_add_f64_e64 v[2:3], v[20:21], -v[18:19]
	v_fma_f64 v[6:7], v[6:7], -0.5, v[118:119]
	s_delay_alu instid0(VALU_DEP_2) | instskip(SKIP_1) | instid1(VALU_DEP_3)
	v_add_f64_e32 v[2:3], v[2:3], v[4:5]
	v_add_f64_e32 v[4:5], v[16:17], v[36:37]
	v_fma_f64 v[26:27], v[14:15], s[16:17], v[6:7]
	v_fma_f64 v[6:7], v[14:15], s[14:15], v[6:7]
	s_delay_alu instid0(VALU_DEP_3) | instskip(NEXT) | instid1(VALU_DEP_3)
	v_fma_f64 v[4:5], v[4:5], -0.5, v[116:117]
	v_fma_f64 v[26:27], v[24:25], s[10:11], v[26:27]
	s_delay_alu instid0(VALU_DEP_3) | instskip(NEXT) | instid1(VALU_DEP_3)
	v_fma_f64 v[6:7], v[24:25], s[2:3], v[6:7]
	v_fma_f64 v[12:13], v[8:9], s[14:15], v[4:5]
	v_fma_f64 v[4:5], v[8:9], s[16:17], v[4:5]
	s_delay_alu instid0(VALU_DEP_3)
	v_fma_f64 v[142:143], v[2:3], s[18:19], v[6:7]
	v_add_f64_e32 v[6:7], v[118:119], v[20:21]
	v_fma_f64 v[158:159], v[2:3], s[18:19], v[26:27]
	v_add_f64_e32 v[2:3], v[20:21], v[42:43]
	v_fma_f64 v[12:13], v[10:11], s[2:3], v[12:13]
	v_fma_f64 v[4:5], v[10:11], s[10:11], v[4:5]
	v_add_f64_e32 v[6:7], v[6:7], v[18:19]
	s_delay_alu instid0(VALU_DEP_4) | instskip(NEXT) | instid1(VALU_DEP_4)
	v_fma_f64 v[2:3], v[2:3], -0.5, v[118:119]
	v_fma_f64 v[156:157], v[0:1], s[18:19], v[12:13]
	s_delay_alu instid0(VALU_DEP_4) | instskip(SKIP_4) | instid1(VALU_DEP_4)
	v_fma_f64 v[140:141], v[0:1], s[18:19], v[4:5]
	v_add_f64_e32 v[4:5], v[116:117], v[40:41]
	v_add_f64_e32 v[0:1], v[40:41], v[22:23]
	;; [unrolled: 1-line block ×3, first 2 shown]
	v_add_f64_e64 v[12:13], v[16:17], -v[40:41]
	v_add_f64_e32 v[4:5], v[4:5], v[16:17]
	s_delay_alu instid0(VALU_DEP_4)
	v_fma_f64 v[0:1], v[0:1], -0.5, v[116:117]
	v_add_f64_e64 v[16:17], v[18:19], -v[20:21]
	v_add_f64_e64 v[18:19], v[36:37], -v[22:23]
	v_add_f64_e32 v[166:167], v[6:7], v[42:43]
	v_add_f64_e64 v[20:21], v[126:127], -v[152:153]
	v_add_f64_e32 v[4:5], v[4:5], v[36:37]
	v_fma_f64 v[6:7], v[10:11], s[16:17], v[0:1]
	v_fma_f64 v[0:1], v[10:11], s[14:15], v[0:1]
	;; [unrolled: 1-line block ×4, first 2 shown]
	v_add_f64_e32 v[12:13], v[12:13], v[18:19]
	v_add_f64_e32 v[164:165], v[4:5], v[22:23]
	v_add_f64_e64 v[4:5], v[38:39], -v[42:43]
	v_fma_f64 v[0:1], v[8:9], s[10:11], v[0:1]
	v_fma_f64 v[6:7], v[8:9], s[2:3], v[6:7]
	;; [unrolled: 1-line block ×4, first 2 shown]
	v_add_f64_e64 v[14:15], v[172:173], -v[152:153]
	v_add_f64_e64 v[10:11], v[124:125], -v[122:123]
	v_add_f64_e32 v[4:5], v[16:17], v[4:5]
	v_fma_f64 v[160:161], v[12:13], s[18:19], v[0:1]
	v_add_f64_e64 v[0:1], v[172:173], -v[120:121]
	v_fma_f64 v[168:169], v[12:13], s[18:19], v[6:7]
	v_add_f64_e32 v[6:7], v[124:125], v[122:123]
	v_add_f64_e64 v[16:17], v[120:121], -v[126:127]
	v_fma_f64 v[162:163], v[4:5], s[18:19], v[2:3]
	v_add_f64_e64 v[2:3], v[152:153], -v[126:127]
	v_fma_f64 v[170:171], v[4:5], s[18:19], v[8:9]
	v_add_f64_e64 v[4:5], v[104:105], -v[122:123]
	v_fma_f64 v[6:7], v[6:7], -0.5, v[110:111]
	v_add_f64_e64 v[8:9], v[154:155], -v[104:105]
	v_add_f64_e32 v[0:1], v[0:1], v[2:3]
	v_add_f64_e64 v[2:3], v[154:155], -v[124:125]
	s_delay_alu instid0(VALU_DEP_4) | instskip(SKIP_1) | instid1(VALU_DEP_3)
	v_fma_f64 v[18:19], v[14:15], s[16:17], v[6:7]
	v_fma_f64 v[6:7], v[14:15], s[14:15], v[6:7]
	v_add_f64_e32 v[2:3], v[2:3], v[4:5]
	v_add_f64_e32 v[4:5], v[120:121], v[126:127]
	s_delay_alu instid0(VALU_DEP_4) | instskip(NEXT) | instid1(VALU_DEP_4)
	v_fma_f64 v[18:19], v[16:17], s[10:11], v[18:19]
	v_fma_f64 v[6:7], v[16:17], s[2:3], v[6:7]
	s_delay_alu instid0(VALU_DEP_3) | instskip(NEXT) | instid1(VALU_DEP_3)
	v_fma_f64 v[4:5], v[4:5], -0.5, v[108:109]
	v_fma_f64 v[130:131], v[2:3], s[18:19], v[18:19]
	s_delay_alu instid0(VALU_DEP_3)
	v_fma_f64 v[118:119], v[2:3], s[18:19], v[6:7]
	v_add_f64_e32 v[6:7], v[110:111], v[154:155]
	v_add_f64_e32 v[2:3], v[154:155], v[104:105]
	v_add_f64_e64 v[18:19], v[124:125], -v[154:155]
	v_fma_f64 v[12:13], v[8:9], s[14:15], v[4:5]
	v_fma_f64 v[4:5], v[8:9], s[16:17], v[4:5]
	v_add_f64_e32 v[6:7], v[6:7], v[124:125]
	v_fma_f64 v[2:3], v[2:3], -0.5, v[110:111]
	s_delay_alu instid0(VALU_DEP_4) | instskip(NEXT) | instid1(VALU_DEP_4)
	v_fma_f64 v[12:13], v[10:11], s[2:3], v[12:13]
	v_fma_f64 v[4:5], v[10:11], s[10:11], v[4:5]
	s_delay_alu instid0(VALU_DEP_4) | instskip(NEXT) | instid1(VALU_DEP_3)
	v_add_f64_e32 v[6:7], v[6:7], v[122:123]
	v_fma_f64 v[128:129], v[0:1], s[18:19], v[12:13]
	s_delay_alu instid0(VALU_DEP_3) | instskip(SKIP_4) | instid1(VALU_DEP_4)
	v_fma_f64 v[116:117], v[0:1], s[18:19], v[4:5]
	v_add_f64_e32 v[0:1], v[172:173], v[152:153]
	v_add_f64_e64 v[12:13], v[120:121], -v[172:173]
	v_add_f64_e32 v[154:155], v[6:7], v[104:105]
	v_add_f64_e32 v[4:5], v[108:109], v[172:173]
	v_fma_f64 v[0:1], v[0:1], -0.5, v[108:109]
	s_delay_alu instid0(VALU_DEP_4) | instskip(NEXT) | instid1(VALU_DEP_3)
	v_add_f64_e32 v[12:13], v[12:13], v[20:21]
	v_add_f64_e32 v[4:5], v[4:5], v[120:121]
	s_delay_alu instid0(VALU_DEP_3) | instskip(SKIP_2) | instid1(VALU_DEP_4)
	v_fma_f64 v[6:7], v[10:11], s[16:17], v[0:1]
	v_fma_f64 v[0:1], v[10:11], s[14:15], v[0:1]
	;; [unrolled: 1-line block ×3, first 2 shown]
	v_add_f64_e32 v[4:5], v[4:5], v[126:127]
	v_fma_f64 v[2:3], v[16:17], s[16:17], v[2:3]
	v_fma_f64 v[6:7], v[8:9], s[2:3], v[6:7]
	;; [unrolled: 1-line block ×4, first 2 shown]
	v_add_f64_e32 v[152:153], v[4:5], v[152:153]
	v_add_f64_e64 v[4:5], v[122:123], -v[104:105]
	v_fma_f64 v[2:3], v[14:15], s[2:3], v[2:3]
	v_fma_f64 v[124:125], v[12:13], s[18:19], v[6:7]
	;; [unrolled: 1-line block ×3, first 2 shown]
	scratch_load_b32 v0, off, off offset:8  ; 4-byte Folded Reload
	v_add_f64_e32 v[4:5], v[18:19], v[4:5]
	s_delay_alu instid0(VALU_DEP_1)
	v_fma_f64 v[126:127], v[4:5], s[18:19], v[8:9]
	v_fma_f64 v[122:123], v[4:5], s[18:19], v[2:3]
	s_wait_loadcnt 0x0
	v_lshl_add_u32 v245, v60, 4, v0
	v_add_nc_u32_e32 v246, v255, v0
	ds_store_b128 v245, v[132:135] offset:3536
	ds_store_b128 v245, v[144:147] offset:7072
	;; [unrolled: 1-line block ×4, first 2 shown]
	ds_store_b128 v245, v[112:115]
	ds_store_b128 v245, v[164:167] offset:1360
	ds_store_b128 v246, v[156:159] offset:4896
	;; [unrolled: 1-line block ×5, first 2 shown]
	s_and_saveexec_b32 s1, s0
	s_cbranch_execz .LBB0_11
; %bb.10:
	ds_store_b128 v245, v[152:155] offset:2720
	ds_store_b128 v245, v[128:131] offset:6256
	;; [unrolled: 1-line block ×5, first 2 shown]
.LBB0_11:
	s_wait_alu 0xfffe
	s_or_b32 exec_lo, exec_lo, s1
	global_wb scope:SCOPE_SE
	s_wait_storecnt_dscnt 0x0
	s_barrier_signal -1
	s_barrier_wait -1
	global_inv scope:SCOPE_SE
	s_and_saveexec_b32 s1, vcc_lo
	s_cbranch_execz .LBB0_13
; %bb.12:
	global_load_b128 v[104:107], v255, s[8:9] offset:17680
	s_add_nc_u64 s[2:3], s[8:9], 0x4510
	s_clause 0x5
	global_load_b128 v[108:111], v255, s[2:3] offset:1040
	global_load_b128 v[172:175], v255, s[2:3] offset:2080
	;; [unrolled: 1-line block ×6, first 2 shown]
	ds_load_b128 v[185:188], v245
	ds_load_b128 v[193:196], v245 offset:6240
	ds_load_b128 v[229:232], v245 offset:12480
	;; [unrolled: 1-line block ×11, first 2 shown]
	s_wait_loadcnt_dscnt 0x60b
	v_mul_f64_e32 v[0:1], v[187:188], v[106:107]
	v_mul_f64_e32 v[2:3], v[185:186], v[106:107]
	s_delay_alu instid0(VALU_DEP_2) | instskip(NEXT) | instid1(VALU_DEP_2)
	v_fma_f64 v[185:186], v[185:186], v[104:105], -v[0:1]
	v_fma_f64 v[187:188], v[187:188], v[104:105], v[2:3]
	ds_load_b128 v[104:107], v245 offset:1040
	s_wait_loadcnt_dscnt 0x500
	v_mul_f64_e32 v[0:1], v[106:107], v[110:111]
	v_mul_f64_e32 v[2:3], v[104:105], v[110:111]
	s_delay_alu instid0(VALU_DEP_2) | instskip(NEXT) | instid1(VALU_DEP_2)
	v_fma_f64 v[104:105], v[104:105], v[108:109], -v[0:1]
	v_fma_f64 v[106:107], v[106:107], v[108:109], v[2:3]
	ds_load_b128 v[108:111], v245 offset:2080
	;; [unrolled: 7-line block ×5, first 2 shown]
	s_wait_loadcnt_dscnt 0x100
	v_mul_f64_e32 v[0:1], v[183:184], v[191:192]
	v_mul_f64_e32 v[2:3], v[181:182], v[191:192]
	s_delay_alu instid0(VALU_DEP_2) | instskip(NEXT) | instid1(VALU_DEP_2)
	v_fma_f64 v[181:182], v[181:182], v[189:190], -v[0:1]
	v_fma_f64 v[183:184], v[183:184], v[189:190], v[2:3]
	global_load_b128 v[189:192], v255, s[2:3] offset:6240
	s_wait_loadcnt 0x0
	v_mul_f64_e32 v[0:1], v[195:196], v[191:192]
	v_mul_f64_e32 v[2:3], v[193:194], v[191:192]
	s_delay_alu instid0(VALU_DEP_2) | instskip(NEXT) | instid1(VALU_DEP_2)
	v_fma_f64 v[191:192], v[193:194], v[189:190], -v[0:1]
	v_fma_f64 v[193:194], v[195:196], v[189:190], v[2:3]
	global_load_b128 v[195:198], v255, s[2:3] offset:7280
	s_wait_loadcnt 0x0
	;; [unrolled: 7-line block ×10, first 2 shown]
	v_mul_f64_e32 v[0:1], v[253:254], v[249:250]
	v_mul_f64_e32 v[2:3], v[251:252], v[249:250]
	s_delay_alu instid0(VALU_DEP_2) | instskip(NEXT) | instid1(VALU_DEP_2)
	v_fma_f64 v[249:250], v[251:252], v[247:248], -v[0:1]
	v_fma_f64 v[251:252], v[253:254], v[247:248], v[2:3]
	v_mul_f64_e32 v[0:1], v[26:27], v[22:23]
	v_mul_f64_e32 v[2:3], v[24:25], v[22:23]
	s_delay_alu instid0(VALU_DEP_2) | instskip(NEXT) | instid1(VALU_DEP_2)
	v_fma_f64 v[22:23], v[24:25], v[20:21], -v[0:1]
	v_fma_f64 v[24:25], v[26:27], v[20:21], v[2:3]
	ds_store_b128 v245, v[185:188]
	ds_store_b128 v245, v[104:107] offset:1040
	ds_store_b128 v245, v[108:111] offset:2080
	ds_store_b128 v245, v[172:175] offset:3120
	ds_store_b128 v245, v[177:180] offset:4160
	ds_store_b128 v245, v[181:184] offset:5200
	ds_store_b128 v245, v[191:194] offset:6240
	ds_store_b128 v245, v[197:200] offset:7280
	ds_store_b128 v245, v[203:206] offset:8320
	ds_store_b128 v245, v[209:212] offset:9360
	ds_store_b128 v245, v[215:218] offset:10400
	ds_store_b128 v245, v[221:224] offset:11440
	ds_store_b128 v245, v[227:230] offset:12480
	ds_store_b128 v245, v[233:236] offset:13520
	ds_store_b128 v245, v[239:242] offset:14560
	ds_store_b128 v245, v[249:252] offset:15600
	ds_store_b128 v245, v[22:25] offset:16640
.LBB0_13:
	s_wait_alu 0xfffe
	s_or_b32 exec_lo, exec_lo, s1
	global_wb scope:SCOPE_SE
	s_wait_dscnt 0x0
	s_barrier_signal -1
	s_barrier_wait -1
	global_inv scope:SCOPE_SE
	s_and_saveexec_b32 s1, vcc_lo
	s_cbranch_execz .LBB0_15
; %bb.14:
	ds_load_b128 v[112:115], v245
	ds_load_b128 v[132:135], v245 offset:1040
	ds_load_b128 v[144:147], v245 offset:2080
	;; [unrolled: 1-line block ×15, first 2 shown]
	s_wait_dscnt 0x0
	scratch_store_b128 off, v[0:3], off offset:28 ; 16-byte Folded Spill
	ds_load_b128 v[0:3], v245 offset:16640
	s_wait_dscnt 0x0
	scratch_store_b128 off, v[0:3], off offset:12 ; 16-byte Folded Spill
.LBB0_15:
	s_wait_alu 0xfffe
	s_or_b32 exec_lo, exec_lo, s1
	s_clause 0x1
	scratch_load_b128 v[6:9], off, off offset:12
	scratch_load_b128 v[10:13], off, off offset:28
	s_mov_b32 s14, 0x7c9e640b
	s_mov_b32 s15, 0xbfeca52d
	;; [unrolled: 1-line block ×8, first 2 shown]
	v_add_f64_e64 v[185:186], v[150:151], -v[118:119]
	s_mov_b32 s22, 0xacd6c6b4
	s_mov_b32 s23, 0xbfc7851a
	;; [unrolled: 1-line block ×3, first 2 shown]
	s_wait_alu 0xfffe
	s_mov_b32 s46, s22
	v_add_f64_e32 v[177:178], v[148:149], v[116:117]
	v_add_f64_e32 v[181:182], v[150:151], v[118:119]
	s_mov_b32 s18, 0x7faef3
	s_mov_b32 s19, 0xbfef7484
	v_add_f64_e64 v[199:200], v[148:149], -v[116:117]
	v_add_f64_e64 v[195:196], v[138:139], -v[122:123]
	s_mov_b32 s28, 0x923c349f
	s_mov_b32 s29, 0x3feec746
	v_add_f64_e32 v[183:184], v[136:137], v[120:121]
	v_add_f64_e32 v[189:190], v[138:139], v[122:123]
	s_mov_b32 s20, 0xc61f0d01
	s_mov_b32 s21, 0xbfd183b1
	v_add_f64_e64 v[213:214], v[136:137], -v[120:121]
	v_add_f64_e64 v[209:210], v[166:167], -v[126:127]
	s_mov_b32 s36, 0x2a9d6da3
	;; [unrolled: 8-line block ×3, first 2 shown]
	s_mov_b32 s41, 0x3fd71e95
	s_mov_b32 s39, 0xbfd71e95
	s_wait_alu 0xfffe
	s_mov_b32 s38, s40
	v_add_f64_e32 v[197:198], v[156:157], v[128:129]
	v_add_f64_e32 v[201:202], v[158:159], v[130:131]
	s_mov_b32 s26, 0x370991
	s_mov_b32 s27, 0x3fedd6d0
	v_add_f64_e64 v[221:222], v[156:157], -v[128:129]
	v_add_f64_e64 v[219:220], v[170:171], -v[154:155]
	s_mov_b32 s42, 0xeb564b22
	v_mul_f64_e32 v[32:33], s[46:47], v[185:186]
	s_mov_b32 s43, 0xbfefdd0d
	v_add_f64_e32 v[203:204], v[168:169], v[152:153]
	v_add_f64_e32 v[205:206], v[170:171], v[154:155]
	s_mov_b32 s30, 0x3259b75e
	s_mov_b32 s31, 0x3fb79ee6
	v_mul_f64_e32 v[60:61], s[18:19], v[181:182]
	v_add_f64_e64 v[225:226], v[168:169], -v[152:153]
	v_add_f64_e64 v[223:224], v[162:163], -v[142:143]
	s_mov_b32 s44, 0x4363dd80
	v_mul_f64_e32 v[34:35], s[28:29], v[195:196]
	s_mov_b32 s45, 0xbfe0d888
	v_add_f64_e32 v[207:208], v[160:161], v[140:141]
	v_add_f64_e32 v[211:212], v[162:163], v[142:143]
	v_mul_f64_e32 v[62:63], s[20:21], v[189:190]
	s_mov_b32 s34, 0x910ea3b9
	s_mov_b32 s35, 0xbfeb34fa
	v_add_f64_e64 v[227:228], v[160:161], -v[140:141]
	v_mul_f64_e32 v[64:65], s[36:37], v[209:210]
	v_mul_f64_e32 v[78:79], s[28:29], v[185:186]
	;; [unrolled: 1-line block ×5, first 2 shown]
	s_wait_alu 0xfffe
	v_mul_f64_e32 v[251:252], s[26:27], v[189:190]
	v_mul_f64_e32 v[247:248], s[14:15], v[209:210]
	;; [unrolled: 1-line block ×5, first 2 shown]
	s_mov_b32 s49, 0x3fe9895b
	s_mov_b32 s48, s16
	v_mul_f64_e32 v[74:75], s[26:27], v[201:202]
	v_mul_f64_e32 v[249:250], s[34:35], v[201:202]
	;; [unrolled: 1-line block ×3, first 2 shown]
	s_wait_alu 0xfffe
	v_mul_f64_e32 v[22:23], s[48:49], v[219:220]
	v_mul_f64_e32 v[80:81], s[30:31], v[205:206]
	v_mul_f64_e32 v[229:230], s[10:11], v[205:206]
	v_mul_f64_e32 v[76:77], s[44:45], v[223:224]
	v_mul_f64_e32 v[108:109], s[36:37], v[223:224]
	v_mul_f64_e32 v[106:107], s[34:35], v[211:212]
	s_wait_loadcnt 0x1
	v_add_f64_e64 v[237:238], v[134:135], -v[8:9]
	v_add_f64_e32 v[235:236], v[132:133], v[6:7]
	s_wait_loadcnt 0x0
	v_add_f64_e64 v[179:180], v[146:147], -v[12:13]
	v_add_f64_e32 v[172:173], v[144:145], v[10:11]
	v_add_f64_e32 v[253:254], v[134:135], v[8:9]
	v_add_f64_e64 v[239:240], v[132:133], -v[6:7]
	v_add_f64_e32 v[174:175], v[146:147], v[12:13]
	v_add_f64_e64 v[187:188], v[144:145], -v[10:11]
	v_mul_f64_e32 v[18:19], s[14:15], v[237:238]
	v_mul_f64_e32 v[233:234], s[42:43], v[237:238]
	v_mul_f64_e32 v[28:29], s[16:17], v[179:180]
	v_mul_f64_e32 v[72:73], s[22:23], v[179:180]
	v_mul_f64_e32 v[20:21], s[2:3], v[253:254]
	v_mul_f64_e32 v[241:242], s[30:31], v[253:254]
	v_mul_f64_e32 v[30:31], s[10:11], v[174:175]
	v_mul_f64_e32 v[82:83], s[18:19], v[174:175]
	v_fma_f64 v[0:1], v[235:236], s[2:3], -v[18:19]
	v_fma_f64 v[2:3], v[172:173], s[10:11], -v[28:29]
	s_delay_alu instid0(VALU_DEP_4) | instskip(NEXT) | instid1(VALU_DEP_3)
	v_fma_f64 v[4:5], v[187:188], s[16:17], v[30:31]
	v_add_f64_e32 v[0:1], v[112:113], v[0:1]
	s_delay_alu instid0(VALU_DEP_1) | instskip(SKIP_1) | instid1(VALU_DEP_1)
	v_add_f64_e32 v[0:1], v[2:3], v[0:1]
	v_fma_f64 v[2:3], v[239:240], s[14:15], v[20:21]
	v_add_f64_e32 v[2:3], v[114:115], v[2:3]
	s_delay_alu instid0(VALU_DEP_1) | instskip(SKIP_1) | instid1(VALU_DEP_1)
	v_add_f64_e32 v[2:3], v[4:5], v[2:3]
	v_fma_f64 v[4:5], v[177:178], s[18:19], -v[32:33]
	v_add_f64_e32 v[0:1], v[4:5], v[0:1]
	v_fma_f64 v[4:5], v[199:200], s[46:47], v[60:61]
	s_delay_alu instid0(VALU_DEP_1) | instskip(SKIP_1) | instid1(VALU_DEP_1)
	v_add_f64_e32 v[2:3], v[4:5], v[2:3]
	v_fma_f64 v[4:5], v[183:184], s[20:21], -v[34:35]
	v_add_f64_e32 v[0:1], v[4:5], v[0:1]
	v_fma_f64 v[4:5], v[213:214], s[28:29], v[62:63]
	;; [unrolled: 5-line block ×6, first 2 shown]
	v_fma_f64 v[4:5], v[187:188], s[22:23], v[82:83]
	s_delay_alu instid0(VALU_DEP_2) | instskip(SKIP_4) | instid1(VALU_DEP_1)
	v_add_f64_e32 v[16:17], v[0:1], v[2:3]
	v_fma_f64 v[0:1], v[235:236], s[30:31], -v[233:234]
	v_fma_f64 v[2:3], v[172:173], s[18:19], -v[72:73]
	scratch_store_b128 off, v[14:17], off offset:52 ; 16-byte Folded Spill
	v_add_f64_e32 v[0:1], v[112:113], v[0:1]
	v_add_f64_e32 v[0:1], v[2:3], v[0:1]
	v_fma_f64 v[2:3], v[239:240], s[42:43], v[241:242]
	s_delay_alu instid0(VALU_DEP_1) | instskip(NEXT) | instid1(VALU_DEP_1)
	v_add_f64_e32 v[2:3], v[114:115], v[2:3]
	v_add_f64_e32 v[2:3], v[4:5], v[2:3]
	v_fma_f64 v[4:5], v[177:178], s[20:21], -v[78:79]
	s_delay_alu instid0(VALU_DEP_1) | instskip(SKIP_1) | instid1(VALU_DEP_1)
	v_add_f64_e32 v[0:1], v[4:5], v[0:1]
	v_fma_f64 v[4:5], v[199:200], s[28:29], v[24:25]
	v_add_f64_e32 v[2:3], v[4:5], v[2:3]
	v_fma_f64 v[4:5], v[183:184], s[26:27], -v[104:105]
	s_delay_alu instid0(VALU_DEP_1) | instskip(SKIP_1) | instid1(VALU_DEP_1)
	v_add_f64_e32 v[0:1], v[4:5], v[0:1]
	v_fma_f64 v[4:5], v[213:214], s[40:41], v[251:252]
	;; [unrolled: 5-line block ×5, first 2 shown]
	v_add_f64_e32 v[2:3], v[4:5], v[2:3]
	v_fma_f64 v[4:5], v[207:208], s[24:25], -v[108:109]
	s_delay_alu instid0(VALU_DEP_1) | instskip(SKIP_1) | instid1(VALU_DEP_1)
	v_add_f64_e32 v[14:15], v[4:5], v[0:1]
	v_mul_f64_e32 v[4:5], s[24:25], v[211:212]
	v_fma_f64 v[0:1], v[227:228], s[36:37], v[4:5]
	s_delay_alu instid0(VALU_DEP_1)
	v_add_f64_e32 v[16:17], v[0:1], v[2:3]
	scratch_store_b128 off, v[14:17], off offset:68 ; 16-byte Folded Spill
	global_wb scope:SCOPE_SE
	s_wait_storecnt 0x0
	s_barrier_signal -1
	s_barrier_wait -1
	global_inv scope:SCOPE_SE
	s_and_saveexec_b32 s1, vcc_lo
	s_cbranch_execz .LBB0_17
; %bb.16:
	v_add_f64_e32 v[0:1], v[114:115], v[134:135]
	v_add_f64_e32 v[2:3], v[112:113], v[132:133]
	s_mov_b32 s55, 0xbfeec746
	s_mov_b32 s54, s28
	v_mul_f64_e32 v[14:15], s[44:45], v[239:240]
	v_mul_f64_e32 v[50:51], s[38:39], v[237:238]
	s_wait_alu 0xfffe
	v_mul_f64_e32 v[52:53], s[54:55], v[237:238]
	s_mov_b32 s57, 0xbfe58eea
	s_mov_b32 s56, s36
	v_mul_f64_e32 v[44:45], s[22:23], v[237:238]
	v_mul_f64_e32 v[46:47], s[44:45], v[237:238]
	;; [unrolled: 1-line block ×3, first 2 shown]
	s_wait_alu 0xfffe
	v_mul_f64_e32 v[54:55], s[56:57], v[237:238]
	v_mul_f64_e32 v[16:17], s[16:17], v[239:240]
	s_mov_b32 s53, 0x3feca52d
	s_mov_b32 s52, s14
	;; [unrolled: 1-line block ×4, first 2 shown]
	v_mul_f64_e32 v[237:238], s[48:49], v[213:214]
	v_add_f64_e32 v[0:1], v[0:1], v[146:147]
	v_add_f64_e32 v[2:3], v[2:3], v[144:145]
	v_dual_mov_b32 v147, v5 :: v_dual_mov_b32 v146, v4
	v_fma_f64 v[26:27], v[253:254], s[34:35], v[14:15]
	v_fma_f64 v[94:95], v[235:236], s[26:27], -v[50:51]
	v_fma_f64 v[50:51], v[235:236], s[26:27], v[50:51]
	v_fma_f64 v[96:97], v[235:236], s[20:21], -v[52:53]
	v_dual_mov_b32 v145, v25 :: v_dual_mov_b32 v144, v24
	v_fma_f64 v[56:57], v[235:236], s[18:19], -v[44:45]
	v_fma_f64 v[44:45], v[235:236], s[18:19], v[44:45]
	v_fma_f64 v[58:59], v[235:236], s[34:35], -v[46:47]
	v_fma_f64 v[46:47], v[235:236], s[34:35], v[46:47]
	;; [unrolled: 2-line block ×3, first 2 shown]
	v_fma_f64 v[52:53], v[235:236], s[20:21], v[52:53]
	v_fma_f64 v[98:99], v[235:236], s[24:25], -v[54:55]
	v_fma_f64 v[54:55], v[235:236], s[24:25], v[54:55]
	v_fma_f64 v[14:15], v[253:254], s[34:35], -v[14:15]
	;; [unrolled: 2-line block ×3, first 2 shown]
	v_add_f64_e32 v[0:1], v[0:1], v[150:151]
	v_add_f64_e32 v[2:3], v[2:3], v[148:149]
	v_mul_f64_e32 v[148:149], s[56:57], v[215:216]
	v_mul_f64_e32 v[150:151], s[22:23], v[225:226]
	v_add_f64_e32 v[94:95], v[112:113], v[94:95]
	v_add_f64_e32 v[56:57], v[112:113], v[56:57]
	;; [unrolled: 1-line block ×15, first 2 shown]
	s_wait_alu 0xfffe
	v_mul_f64_e32 v[138:139], s[50:51], v[227:228]
	s_delay_alu instid0(VALU_DEP_3) | instskip(NEXT) | instid1(VALU_DEP_3)
	v_add_f64_e32 v[0:1], v[0:1], v[166:167]
	v_add_f64_e32 v[2:3], v[2:3], v[164:165]
	v_mul_f64_e32 v[164:165], s[16:17], v[215:216]
	v_mul_f64_e32 v[166:167], s[44:45], v[225:226]
	s_delay_alu instid0(VALU_DEP_4) | instskip(NEXT) | instid1(VALU_DEP_4)
	v_add_f64_e32 v[0:1], v[0:1], v[158:159]
	v_add_f64_e32 v[2:3], v[2:3], v[156:157]
	v_mul_f64_e32 v[156:157], s[42:43], v[195:196]
	v_mul_f64_e32 v[158:159], s[54:55], v[217:218]
	s_delay_alu instid0(VALU_DEP_4) | instskip(NEXT) | instid1(VALU_DEP_4)
	;; [unrolled: 5-line block ×4, first 2 shown]
	v_add_f64_e32 v[0:1], v[0:1], v[142:143]
	v_add_f64_e32 v[2:3], v[2:3], v[140:141]
	v_dual_mov_b32 v143, v23 :: v_dual_mov_b32 v142, v22
	v_mul_f64_e32 v[22:23], s[56:57], v[239:240]
	v_mul_f64_e32 v[140:141], s[50:51], v[223:224]
	v_add_f64_e32 v[0:1], v[0:1], v[154:155]
	v_add_f64_e32 v[2:3], v[2:3], v[152:153]
	v_mul_f64_e32 v[152:153], s[14:15], v[185:186]
	v_mul_f64_e32 v[154:155], s[42:43], v[213:214]
	v_fma_f64 v[42:43], v[253:254], s[24:25], v[22:23]
	v_fma_f64 v[22:23], v[253:254], s[24:25], -v[22:23]
	v_add_f64_e32 v[0:1], v[0:1], v[130:131]
	v_add_f64_e32 v[2:3], v[2:3], v[128:129]
	;; [unrolled: 1-line block ×6, first 2 shown]
	v_mul_f64_e32 v[22:23], s[40:41], v[179:180]
	v_add_f64_e32 v[42:43], v[114:115], v[42:43]
	v_add_f64_e32 v[0:1], v[0:1], v[126:127]
	;; [unrolled: 1-line block ×3, first 2 shown]
	s_delay_alu instid0(VALU_DEP_2) | instskip(NEXT) | instid1(VALU_DEP_2)
	v_add_f64_e32 v[0:1], v[0:1], v[122:123]
	v_add_f64_e32 v[2:3], v[2:3], v[120:121]
	s_delay_alu instid0(VALU_DEP_2) | instskip(NEXT) | instid1(VALU_DEP_2)
	v_add_f64_e32 v[0:1], v[0:1], v[118:119]
	v_add_f64_e32 v[2:3], v[2:3], v[116:117]
	;; [unrolled: 3-line block ×3, first 2 shown]
	v_mul_f64_e32 v[12:13], s[22:23], v[239:240]
	v_mul_f64_e32 v[10:11], s[2:3], v[235:236]
	s_delay_alu instid0(VALU_DEP_4)
	v_add_f64_e32 v[2:3], v[0:1], v[8:9]
	v_mul_f64_e32 v[8:9], s[14:15], v[239:240]
	v_add_f64_e32 v[0:1], v[4:5], v[6:7]
	v_mul_f64_e32 v[4:5], s[42:43], v[239:240]
	v_mul_f64_e32 v[6:7], s[30:31], v[235:236]
	v_fma_f64 v[24:25], v[253:254], s[18:19], v[12:13]
	v_add_f64_e32 v[10:11], v[10:11], v[18:19]
	v_mul_f64_e32 v[18:19], s[38:39], v[239:240]
	v_fma_f64 v[12:13], v[253:254], s[18:19], -v[12:13]
	v_mul_f64_e32 v[235:236], s[42:43], v[185:186]
	v_add_f64_e64 v[8:9], v[20:21], -v[8:9]
	v_mul_f64_e32 v[20:21], s[54:55], v[239:240]
	v_add_f64_e64 v[4:5], v[241:242], -v[4:5]
	v_add_f64_e32 v[6:7], v[6:7], v[233:234]
	v_add_f64_e32 v[24:25], v[114:115], v[24:25]
	;; [unrolled: 1-line block ×3, first 2 shown]
	v_fma_f64 v[38:39], v[253:254], s[26:27], v[18:19]
	v_fma_f64 v[18:19], v[253:254], s[26:27], -v[18:19]
	v_add_f64_e32 v[12:13], v[114:115], v[12:13]
	v_mul_f64_e32 v[233:234], s[42:43], v[199:200]
	v_mul_f64_e32 v[239:240], s[48:49], v[195:196]
	;; [unrolled: 1-line block ×3, first 2 shown]
	v_add_f64_e32 v[8:9], v[114:115], v[8:9]
	v_fma_f64 v[40:41], v[253:254], s[20:21], v[20:21]
	v_fma_f64 v[20:21], v[253:254], s[20:21], -v[20:21]
	v_add_f64_e32 v[116:117], v[114:115], v[4:5]
	v_add_f64_e32 v[118:119], v[112:113], v[6:7]
	v_fma_f64 v[6:7], v[172:173], s[26:27], -v[22:23]
	v_add_f64_e32 v[38:39], v[114:115], v[38:39]
	v_add_f64_e32 v[18:19], v[114:115], v[18:19]
	v_mul_f64_e32 v[253:254], s[36:37], v[225:226]
	v_add_f64_e32 v[40:41], v[114:115], v[40:41]
	v_add_f64_e32 v[96:97], v[114:115], v[20:21]
	v_mul_f64_e32 v[20:21], s[40:41], v[187:188]
	v_add_f64_e32 v[6:7], v[6:7], v[56:57]
	s_delay_alu instid0(VALU_DEP_2) | instskip(SKIP_1) | instid1(VALU_DEP_2)
	v_fma_f64 v[4:5], v[174:175], s[26:27], v[20:21]
	v_fma_f64 v[20:21], v[174:175], s[26:27], -v[20:21]
	v_add_f64_e32 v[4:5], v[4:5], v[24:25]
	v_mul_f64_e32 v[24:25], s[44:45], v[199:200]
	s_delay_alu instid0(VALU_DEP_3) | instskip(SKIP_1) | instid1(VALU_DEP_3)
	v_add_f64_e32 v[12:13], v[20:21], v[12:13]
	v_fma_f64 v[20:21], v[172:173], s[26:27], v[22:23]
	v_fma_f64 v[56:57], v[181:182], s[34:35], v[24:25]
	v_fma_f64 v[22:23], v[181:182], s[34:35], -v[24:25]
	s_delay_alu instid0(VALU_DEP_3)
	v_add_f64_e32 v[20:21], v[20:21], v[44:45]
	v_fma_f64 v[24:25], v[207:208], s[30:31], v[140:141]
	v_mul_f64_e32 v[44:45], s[56:57], v[179:180]
	v_add_f64_e32 v[4:5], v[56:57], v[4:5]
	v_mul_f64_e32 v[56:57], s[44:45], v[185:186]
	v_add_f64_e32 v[12:13], v[22:23], v[12:13]
	s_delay_alu instid0(VALU_DEP_2) | instskip(SKIP_2) | instid1(VALU_DEP_3)
	v_fma_f64 v[112:113], v[177:178], s[34:35], -v[56:57]
	v_fma_f64 v[22:23], v[177:178], s[34:35], v[56:57]
	v_mul_f64_e32 v[56:57], s[14:15], v[199:200]
	v_add_f64_e32 v[6:7], v[112:113], v[6:7]
	v_mul_f64_e32 v[112:113], s[36:37], v[213:214]
	s_delay_alu instid0(VALU_DEP_4) | instskip(NEXT) | instid1(VALU_DEP_2)
	v_add_f64_e32 v[20:21], v[22:23], v[20:21]
	v_fma_f64 v[114:115], v[189:190], s[24:25], v[112:113]
	v_fma_f64 v[22:23], v[189:190], s[24:25], -v[112:113]
	s_delay_alu instid0(VALU_DEP_2) | instskip(SKIP_1) | instid1(VALU_DEP_3)
	v_add_f64_e32 v[4:5], v[114:115], v[4:5]
	v_mul_f64_e32 v[114:115], s[36:37], v[195:196]
	v_add_f64_e32 v[12:13], v[22:23], v[12:13]
	s_delay_alu instid0(VALU_DEP_2) | instskip(SKIP_2) | instid1(VALU_DEP_3)
	v_fma_f64 v[120:121], v[183:184], s[24:25], -v[114:115]
	v_fma_f64 v[22:23], v[183:184], s[24:25], v[114:115]
	v_mul_f64_e32 v[114:115], s[16:17], v[187:188]
	v_add_f64_e32 v[6:7], v[120:121], v[6:7]
	v_mul_f64_e32 v[120:121], s[16:17], v[217:218]
	s_delay_alu instid0(VALU_DEP_4) | instskip(NEXT) | instid1(VALU_DEP_4)
	v_add_f64_e32 v[20:21], v[22:23], v[20:21]
	v_add_f64_e64 v[114:115], v[30:31], -v[114:115]
	s_delay_alu instid0(VALU_DEP_3) | instskip(SKIP_2) | instid1(VALU_DEP_4)
	v_fma_f64 v[122:123], v[193:194], s[10:11], v[120:121]
	v_fma_f64 v[22:23], v[193:194], s[10:11], -v[120:121]
	v_mul_f64_e32 v[120:121], s[18:19], v[177:178]
	v_add_f64_e32 v[8:9], v[114:115], v[8:9]
	v_mul_f64_e32 v[114:115], s[26:27], v[197:198]
	v_add_f64_e32 v[4:5], v[122:123], v[4:5]
	v_mul_f64_e32 v[122:123], s[16:17], v[209:210]
	v_add_f64_e32 v[12:13], v[22:23], v[12:13]
	v_add_f64_e32 v[120:121], v[120:121], v[32:33]
	v_add_f64_e32 v[114:115], v[114:115], v[68:69]
	s_delay_alu instid0(VALU_DEP_4) | instskip(SKIP_2) | instid1(VALU_DEP_3)
	v_fma_f64 v[124:125], v[191:192], s[10:11], -v[122:123]
	v_fma_f64 v[22:23], v[191:192], s[10:11], v[122:123]
	v_mul_f64_e32 v[122:123], s[10:11], v[172:173]
	v_add_f64_e32 v[6:7], v[124:125], v[6:7]
	v_mul_f64_e32 v[124:125], s[52:53], v[221:222]
	s_delay_alu instid0(VALU_DEP_4) | instskip(NEXT) | instid1(VALU_DEP_4)
	v_add_f64_e32 v[20:21], v[22:23], v[20:21]
	v_add_f64_e32 v[122:123], v[122:123], v[28:29]
	v_mul_f64_e32 v[28:29], s[36:37], v[219:220]
	s_delay_alu instid0(VALU_DEP_4)
	v_fma_f64 v[126:127], v[201:202], s[2:3], v[124:125]
	v_fma_f64 v[22:23], v[201:202], s[2:3], -v[124:125]
	v_mul_f64_e32 v[124:125], s[28:29], v[213:214]
	v_add_f64_e32 v[10:11], v[122:123], v[10:11]
	v_mul_f64_e32 v[122:123], s[44:45], v[227:228]
	v_fma_f64 v[30:31], v[203:204], s[24:25], v[28:29]
	v_fma_f64 v[28:29], v[203:204], s[24:25], -v[28:29]
	v_add_f64_e32 v[4:5], v[126:127], v[4:5]
	v_mul_f64_e32 v[126:127], s[52:53], v[215:216]
	v_add_f64_e32 v[12:13], v[22:23], v[12:13]
	v_add_f64_e64 v[124:125], v[62:63], -v[124:125]
	v_add_f64_e32 v[10:11], v[120:121], v[10:11]
	v_mul_f64_e32 v[120:121], s[30:31], v[203:204]
	v_add_f64_e64 v[122:123], v[106:107], -v[122:123]
	v_fma_f64 v[130:131], v[197:198], s[2:3], -v[126:127]
	v_fma_f64 v[22:23], v[197:198], s[2:3], v[126:127]
	v_mul_f64_e32 v[126:127], s[20:21], v[183:184]
	v_add_f64_e32 v[120:121], v[120:121], v[70:71]
	s_delay_alu instid0(VALU_DEP_4) | instskip(SKIP_3) | instid1(VALU_DEP_3)
	v_add_f64_e32 v[6:7], v[130:131], v[6:7]
	v_mul_f64_e32 v[130:131], s[54:55], v[225:226]
	v_add_f64_e32 v[20:21], v[22:23], v[20:21]
	v_add_f64_e32 v[126:127], v[126:127], v[34:35]
	v_fma_f64 v[132:133], v[205:206], s[20:21], v[130:131]
	v_fma_f64 v[22:23], v[205:206], s[20:21], -v[130:131]
	v_mul_f64_e32 v[130:131], s[36:37], v[217:218]
	s_delay_alu instid0(VALU_DEP_4)
	v_add_f64_e32 v[10:11], v[126:127], v[10:11]
	v_mul_f64_e32 v[126:127], s[20:21], v[177:178]
	v_add_f64_e32 v[4:5], v[132:133], v[4:5]
	v_mul_f64_e32 v[132:133], s[54:55], v[219:220]
	v_add_f64_e32 v[12:13], v[22:23], v[12:13]
	v_add_f64_e64 v[130:131], v[66:67], -v[130:131]
	v_add_f64_e32 v[126:127], v[126:127], v[78:79]
	s_delay_alu instid0(VALU_DEP_4) | instskip(SKIP_2) | instid1(VALU_DEP_3)
	v_fma_f64 v[22:23], v[203:204], s[20:21], v[132:133]
	v_fma_f64 v[134:135], v[203:204], s[20:21], -v[132:133]
	v_mul_f64_e32 v[132:133], s[24:25], v[191:192]
	v_add_f64_e32 v[20:21], v[22:23], v[20:21]
	v_fma_f64 v[22:23], v[211:212], s[30:31], -v[138:139]
	s_delay_alu instid0(VALU_DEP_4)
	v_add_f64_e32 v[134:135], v[134:135], v[6:7]
	v_fma_f64 v[6:7], v[211:212], s[30:31], v[138:139]
	v_add_f64_e32 v[132:133], v[132:133], v[64:65]
	v_mul_f64_e32 v[138:139], s[44:45], v[213:214]
	v_add_f64_e32 v[20:21], v[24:25], v[20:21]
	v_add_f64_e32 v[22:23], v[22:23], v[12:13]
	v_mul_f64_e32 v[12:13], s[56:57], v[187:188]
	v_add_f64_e32 v[6:7], v[6:7], v[4:5]
	v_fma_f64 v[4:5], v[207:208], s[30:31], -v[140:141]
	v_add_f64_e32 v[10:11], v[132:133], v[10:11]
	v_mul_f64_e32 v[132:133], s[26:27], v[183:184]
	v_mul_f64_e32 v[140:141], s[44:45], v[195:196]
	v_fma_f64 v[24:25], v[174:175], s[24:25], -v[12:13]
	v_add_f64_e32 v[4:5], v[4:5], v[134:135]
	v_mul_f64_e32 v[134:135], s[38:39], v[221:222]
	v_add_f64_e32 v[10:11], v[114:115], v[10:11]
	v_mul_f64_e32 v[114:115], s[34:35], v[207:208]
	v_add_f64_e32 v[132:133], v[132:133], v[104:105]
	v_add_f64_e32 v[18:19], v[24:25], v[18:19]
	v_fma_f64 v[24:25], v[172:173], s[24:25], v[44:45]
	v_add_f64_e64 v[134:135], v[74:75], -v[134:135]
	v_add_f64_e32 v[10:11], v[120:121], v[10:11]
	v_mul_f64_e32 v[120:121], s[28:29], v[199:200]
	s_delay_alu instid0(VALU_DEP_4) | instskip(SKIP_1) | instid1(VALU_DEP_3)
	v_add_f64_e32 v[24:25], v[24:25], v[26:27]
	v_fma_f64 v[26:27], v[181:182], s[2:3], -v[56:57]
	v_add_f64_e64 v[120:121], v[144:145], -v[120:121]
	v_mul_f64_e32 v[144:145], s[50:51], v[209:210]
	s_delay_alu instid0(VALU_DEP_3) | instskip(SKIP_1) | instid1(VALU_DEP_1)
	v_add_f64_e32 v[18:19], v[26:27], v[18:19]
	v_fma_f64 v[26:27], v[177:178], s[2:3], v[152:153]
	v_add_f64_e32 v[24:25], v[26:27], v[24:25]
	v_fma_f64 v[26:27], v[189:190], s[30:31], -v[154:155]
	s_delay_alu instid0(VALU_DEP_1) | instskip(SKIP_1) | instid1(VALU_DEP_1)
	v_add_f64_e32 v[18:19], v[26:27], v[18:19]
	v_fma_f64 v[26:27], v[183:184], s[30:31], v[156:157]
	v_add_f64_e32 v[24:25], v[26:27], v[24:25]
	v_fma_f64 v[26:27], v[193:194], s[20:21], -v[158:159]
	s_delay_alu instid0(VALU_DEP_1) | instskip(SKIP_1) | instid1(VALU_DEP_1)
	;; [unrolled: 5-line block ×5, first 2 shown]
	v_add_f64_e32 v[26:27], v[26:27], v[18:19]
	v_mul_f64_e32 v[18:19], s[22:23], v[223:224]
	v_fma_f64 v[112:113], v[207:208], s[18:19], v[18:19]
	s_delay_alu instid0(VALU_DEP_1) | instskip(SKIP_1) | instid1(VALU_DEP_1)
	v_add_f64_e32 v[24:25], v[112:113], v[24:25]
	v_mul_f64_e32 v[112:113], s[46:47], v[199:200]
	v_add_f64_e64 v[112:113], v[60:61], -v[112:113]
	s_delay_alu instid0(VALU_DEP_1) | instskip(SKIP_1) | instid1(VALU_DEP_2)
	v_add_f64_e32 v[8:9], v[112:113], v[8:9]
	v_mul_f64_e32 v[112:113], s[42:43], v[225:226]
	v_add_f64_e32 v[8:9], v[124:125], v[8:9]
	s_delay_alu instid0(VALU_DEP_2) | instskip(SKIP_1) | instid1(VALU_DEP_3)
	v_add_f64_e64 v[112:113], v[80:81], -v[112:113]
	v_add_f64_e32 v[124:125], v[114:115], v[76:77]
	v_add_f64_e32 v[8:9], v[130:131], v[8:9]
	v_mul_f64_e32 v[130:131], s[18:19], v[172:173]
	s_delay_alu instid0(VALU_DEP_2) | instskip(NEXT) | instid1(VALU_DEP_2)
	v_add_f64_e32 v[8:9], v[134:135], v[8:9]
	v_add_f64_e32 v[130:131], v[130:131], v[72:73]
	v_mul_f64_e32 v[134:135], s[44:45], v[221:222]
	s_mov_b32 s45, 0x3fe0d888
	s_delay_alu instid0(VALU_DEP_3)
	v_add_f64_e32 v[8:9], v[112:113], v[8:9]
	v_add_f64_e32 v[112:113], v[124:125], v[10:11]
	v_mul_f64_e32 v[10:11], s[40:41], v[213:214]
	v_add_f64_e32 v[118:119], v[130:131], v[118:119]
	v_mul_f64_e32 v[124:125], s[2:3], v[191:192]
	v_add_f64_e64 v[134:135], v[249:250], -v[134:135]
	v_mul_f64_e32 v[130:131], s[52:53], v[179:180]
	v_mul_f64_e32 v[249:250], s[22:23], v[221:222]
	v_add_f64_e32 v[114:115], v[122:123], v[8:9]
	v_mul_f64_e32 v[122:123], s[22:23], v[187:188]
	v_mul_f64_e32 v[8:9], s[14:15], v[217:218]
	v_add_f64_e64 v[10:11], v[251:252], -v[10:11]
	v_add_f64_e32 v[118:119], v[126:127], v[118:119]
	v_add_f64_e32 v[124:125], v[124:125], v[247:248]
	v_mul_f64_e32 v[247:248], s[38:39], v[209:210]
	v_mul_f64_e32 v[251:252], s[22:23], v[215:216]
	v_add_f64_e64 v[122:123], v[82:83], -v[122:123]
	v_add_f64_e64 v[8:9], v[231:232], -v[8:9]
	v_mul_f64_e32 v[231:232], s[52:53], v[227:228]
	s_delay_alu instid0(VALU_DEP_3) | instskip(SKIP_1) | instid1(VALU_DEP_2)
	v_add_f64_e32 v[116:117], v[122:123], v[116:117]
	v_mul_f64_e32 v[122:123], s[34:35], v[197:198]
	v_add_f64_e32 v[116:117], v[120:121], v[116:117]
	v_mul_f64_e32 v[120:121], s[48:49], v[225:226]
	s_delay_alu instid0(VALU_DEP_3) | instskip(NEXT) | instid1(VALU_DEP_3)
	v_add_f64_e32 v[122:123], v[122:123], v[110:111]
	v_add_f64_e32 v[10:11], v[10:11], v[116:117]
	;; [unrolled: 1-line block ×3, first 2 shown]
	s_delay_alu instid0(VALU_DEP_4)
	v_add_f64_e64 v[120:121], v[229:230], -v[120:121]
	v_mul_f64_e32 v[118:119], s[10:11], v[203:204]
	v_mul_f64_e32 v[132:133], s[38:39], v[199:200]
	;; [unrolled: 1-line block ×3, first 2 shown]
	v_add_f64_e32 v[8:9], v[8:9], v[10:11]
	v_add_f64_e32 v[10:11], v[124:125], v[116:117]
	v_mul_f64_e32 v[116:117], s[36:37], v[227:228]
	v_add_f64_e32 v[118:119], v[118:119], v[142:143]
	v_mul_f64_e32 v[142:143], s[50:51], v[217:218]
	v_add_f64_e32 v[8:9], v[134:135], v[8:9]
	v_add_f64_e32 v[10:11], v[122:123], v[10:11]
	v_add_f64_e64 v[116:117], v[146:147], -v[116:117]
	v_mul_f64_e32 v[122:123], s[24:25], v[207:208]
	v_mul_f64_e32 v[134:135], s[38:39], v[185:186]
	;; [unrolled: 1-line block ×3, first 2 shown]
	v_add_f64_e32 v[8:9], v[120:121], v[8:9]
	v_add_f64_e32 v[10:11], v[118:119], v[10:11]
	;; [unrolled: 1-line block ×3, first 2 shown]
	s_delay_alu instid0(VALU_DEP_3) | instskip(SKIP_1) | instid1(VALU_DEP_3)
	v_add_f64_e32 v[118:119], v[116:117], v[8:9]
	v_mul_f64_e32 v[8:9], s[28:29], v[187:188]
	v_add_f64_e32 v[116:117], v[122:123], v[10:11]
	s_delay_alu instid0(VALU_DEP_2) | instskip(SKIP_1) | instid1(VALU_DEP_2)
	v_fma_f64 v[10:11], v[174:175], s[20:21], -v[8:9]
	v_fma_f64 v[8:9], v[174:175], s[20:21], v[8:9]
	v_add_f64_e32 v[10:11], v[10:11], v[16:17]
	v_mul_f64_e32 v[16:17], s[28:29], v[179:180]
	s_delay_alu instid0(VALU_DEP_3) | instskip(NEXT) | instid1(VALU_DEP_2)
	v_add_f64_e32 v[8:9], v[8:9], v[36:37]
	v_fma_f64 v[120:121], v[172:173], s[20:21], v[16:17]
	s_delay_alu instid0(VALU_DEP_1) | instskip(SKIP_1) | instid1(VALU_DEP_1)
	v_add_f64_e32 v[48:49], v[120:121], v[48:49]
	v_fma_f64 v[120:121], v[181:182], s[26:27], -v[132:133]
	v_add_f64_e32 v[10:11], v[120:121], v[10:11]
	v_fma_f64 v[120:121], v[177:178], s[26:27], v[134:135]
	s_delay_alu instid0(VALU_DEP_1) | instskip(SKIP_1) | instid1(VALU_DEP_1)
	v_add_f64_e32 v[48:49], v[120:121], v[48:49]
	v_fma_f64 v[120:121], v[189:190], s[34:35], -v[138:139]
	;; [unrolled: 5-line block ×6, first 2 shown]
	v_add_f64_e32 v[122:123], v[120:121], v[10:11]
	v_mul_f64_e32 v[10:11], s[52:53], v[223:224]
	s_delay_alu instid0(VALU_DEP_1) | instskip(SKIP_1) | instid1(VALU_DEP_2)
	v_fma_f64 v[120:121], v[207:208], s[2:3], v[10:11]
	v_fma_f64 v[10:11], v[207:208], s[2:3], -v[10:11]
	v_add_f64_e32 v[120:121], v[120:121], v[48:49]
	v_mul_f64_e32 v[48:49], s[52:53], v[187:188]
	s_delay_alu instid0(VALU_DEP_1) | instskip(NEXT) | instid1(VALU_DEP_1)
	v_fma_f64 v[124:125], v[174:175], s[2:3], -v[48:49]
	v_add_f64_e32 v[14:15], v[124:125], v[14:15]
	v_fma_f64 v[124:125], v[172:173], s[2:3], v[130:131]
	s_delay_alu instid0(VALU_DEP_1) | instskip(SKIP_1) | instid1(VALU_DEP_1)
	v_add_f64_e32 v[46:47], v[124:125], v[46:47]
	v_fma_f64 v[124:125], v[181:182], s[30:31], -v[233:234]
	v_add_f64_e32 v[14:15], v[124:125], v[14:15]
	v_fma_f64 v[124:125], v[177:178], s[30:31], v[235:236]
	s_delay_alu instid0(VALU_DEP_1) | instskip(SKIP_1) | instid1(VALU_DEP_1)
	v_add_f64_e32 v[46:47], v[124:125], v[46:47]
	;; [unrolled: 5-line block ×4, first 2 shown]
	v_fma_f64 v[124:125], v[201:202], s[18:19], -v[249:250]
	v_add_f64_e32 v[14:15], v[124:125], v[14:15]
	v_fma_f64 v[124:125], v[197:198], s[18:19], v[251:252]
	s_delay_alu instid0(VALU_DEP_1) | instskip(SKIP_1) | instid1(VALU_DEP_2)
	v_add_f64_e32 v[46:47], v[124:125], v[46:47]
	v_fma_f64 v[124:125], v[205:206], s[24:25], -v[253:254]
	v_add_f64_e32 v[30:31], v[30:31], v[46:47]
	v_mul_f64_e32 v[46:47], s[54:55], v[227:228]
	s_delay_alu instid0(VALU_DEP_3) | instskip(NEXT) | instid1(VALU_DEP_2)
	v_add_f64_e32 v[14:15], v[124:125], v[14:15]
	v_fma_f64 v[124:125], v[211:212], s[20:21], -v[46:47]
	v_fma_f64 v[46:47], v[211:212], s[20:21], v[46:47]
	s_delay_alu instid0(VALU_DEP_2) | instskip(SKIP_1) | instid1(VALU_DEP_1)
	v_add_f64_e32 v[126:127], v[124:125], v[14:15]
	v_mul_f64_e32 v[14:15], s[54:55], v[223:224]
	v_fma_f64 v[124:125], v[207:208], s[20:21], v[14:15]
	v_fma_f64 v[14:15], v[207:208], s[20:21], -v[14:15]
	s_delay_alu instid0(VALU_DEP_2) | instskip(SKIP_2) | instid1(VALU_DEP_2)
	v_add_f64_e32 v[124:125], v[124:125], v[30:31]
	v_fma_f64 v[30:31], v[174:175], s[2:3], v[48:49]
	v_fma_f64 v[48:49], v[172:173], s[2:3], -v[130:131]
	v_add_f64_e32 v[30:31], v[30:31], v[128:129]
	s_delay_alu instid0(VALU_DEP_2) | instskip(SKIP_1) | instid1(VALU_DEP_1)
	v_add_f64_e32 v[48:49], v[48:49], v[58:59]
	v_fma_f64 v[58:59], v[181:182], s[30:31], v[233:234]
	v_add_f64_e32 v[30:31], v[58:59], v[30:31]
	v_fma_f64 v[58:59], v[177:178], s[30:31], -v[235:236]
	s_delay_alu instid0(VALU_DEP_1) | instskip(SKIP_1) | instid1(VALU_DEP_1)
	v_add_f64_e32 v[48:49], v[58:59], v[48:49]
	v_fma_f64 v[58:59], v[189:190], s[10:11], v[237:238]
	v_add_f64_e32 v[30:31], v[58:59], v[30:31]
	v_fma_f64 v[58:59], v[183:184], s[10:11], -v[239:240]
	s_delay_alu instid0(VALU_DEP_1) | instskip(SKIP_1) | instid1(VALU_DEP_1)
	;; [unrolled: 5-line block ×3, first 2 shown]
	v_add_f64_e32 v[48:49], v[58:59], v[48:49]
	v_fma_f64 v[58:59], v[201:202], s[18:19], v[249:250]
	v_add_f64_e32 v[30:31], v[58:59], v[30:31]
	v_fma_f64 v[58:59], v[197:198], s[18:19], -v[251:252]
	s_delay_alu instid0(VALU_DEP_1) | instskip(SKIP_1) | instid1(VALU_DEP_2)
	v_add_f64_e32 v[48:49], v[58:59], v[48:49]
	v_fma_f64 v[58:59], v[205:206], s[24:25], v[253:254]
	v_add_f64_e32 v[28:29], v[28:29], v[48:49]
	s_delay_alu instid0(VALU_DEP_2) | instskip(NEXT) | instid1(VALU_DEP_2)
	v_add_f64_e32 v[30:31], v[58:59], v[30:31]
	v_add_f64_e32 v[128:129], v[14:15], v[28:29]
	v_fma_f64 v[14:15], v[172:173], s[20:21], -v[16:17]
	v_fma_f64 v[16:17], v[181:182], s[26:27], v[132:133]
	v_mul_f64_e32 v[28:29], s[16:17], v[199:200]
	v_add_f64_e32 v[130:131], v[46:47], v[30:31]
	s_delay_alu instid0(VALU_DEP_4) | instskip(NEXT) | instid1(VALU_DEP_4)
	v_add_f64_e32 v[14:15], v[14:15], v[92:93]
	v_add_f64_e32 v[8:9], v[16:17], v[8:9]
	v_fma_f64 v[16:17], v[177:178], s[26:27], -v[134:135]
	v_fma_f64 v[30:31], v[181:182], s[10:11], -v[28:29]
	s_delay_alu instid0(VALU_DEP_2) | instskip(SKIP_1) | instid1(VALU_DEP_1)
	v_add_f64_e32 v[14:15], v[16:17], v[14:15]
	v_fma_f64 v[16:17], v[189:190], s[34:35], v[138:139]
	v_add_f64_e32 v[8:9], v[16:17], v[8:9]
	v_fma_f64 v[16:17], v[183:184], s[34:35], -v[140:141]
	s_delay_alu instid0(VALU_DEP_1) | instskip(SKIP_1) | instid1(VALU_DEP_1)
	v_add_f64_e32 v[14:15], v[16:17], v[14:15]
	v_fma_f64 v[16:17], v[193:194], s[30:31], v[142:143]
	v_add_f64_e32 v[8:9], v[16:17], v[8:9]
	v_fma_f64 v[16:17], v[191:192], s[30:31], -v[144:145]
	s_wait_alu 0xfffe
	v_mul_f64_e32 v[144:145], s[44:45], v[179:180]
	s_delay_alu instid0(VALU_DEP_2) | instskip(SKIP_3) | instid1(VALU_DEP_3)
	v_add_f64_e32 v[14:15], v[16:17], v[14:15]
	v_fma_f64 v[16:17], v[201:202], s[24:25], v[146:147]
	v_mul_f64_e32 v[146:147], s[36:37], v[199:200]
	v_mul_f64_e32 v[199:200], s[22:23], v[209:210]
	v_add_f64_e32 v[8:9], v[16:17], v[8:9]
	v_fma_f64 v[16:17], v[197:198], s[24:25], -v[148:149]
	v_mul_f64_e32 v[148:149], s[52:53], v[225:226]
	s_delay_alu instid0(VALU_DEP_2) | instskip(SKIP_2) | instid1(VALU_DEP_2)
	v_add_f64_e32 v[14:15], v[16:17], v[14:15]
	v_fma_f64 v[16:17], v[205:206], s[18:19], v[150:151]
	v_mul_f64_e32 v[150:151], s[52:53], v[219:220]
	v_add_f64_e32 v[8:9], v[16:17], v[8:9]
	v_fma_f64 v[16:17], v[203:204], s[18:19], -v[229:230]
	v_mul_f64_e32 v[229:230], s[40:41], v[227:228]
	s_delay_alu instid0(VALU_DEP_2) | instskip(SKIP_1) | instid1(VALU_DEP_2)
	v_add_f64_e32 v[14:15], v[16:17], v[14:15]
	v_fma_f64 v[16:17], v[211:212], s[2:3], v[231:232]
	v_add_f64_e32 v[132:133], v[10:11], v[14:15]
	s_delay_alu instid0(VALU_DEP_2) | instskip(SKIP_3) | instid1(VALU_DEP_3)
	v_add_f64_e32 v[134:135], v[16:17], v[8:9]
	v_mul_f64_e32 v[8:9], s[42:43], v[187:188]
	v_mul_f64_e32 v[14:15], s[42:43], v[179:180]
	;; [unrolled: 1-line block ×3, first 2 shown]
	v_fma_f64 v[10:11], v[174:175], s[30:31], -v[8:9]
	s_delay_alu instid0(VALU_DEP_3) | instskip(SKIP_2) | instid1(VALU_DEP_4)
	v_fma_f64 v[16:17], v[172:173], s[30:31], v[14:15]
	v_fma_f64 v[8:9], v[174:175], s[30:31], v[8:9]
	v_fma_f64 v[14:15], v[172:173], s[30:31], -v[14:15]
	v_add_f64_e32 v[10:11], v[10:11], v[136:137]
	s_delay_alu instid0(VALU_DEP_4) | instskip(NEXT) | instid1(VALU_DEP_4)
	v_add_f64_e32 v[16:17], v[16:17], v[54:55]
	v_add_f64_e32 v[8:9], v[8:9], v[42:43]
	s_delay_alu instid0(VALU_DEP_4) | instskip(NEXT) | instid1(VALU_DEP_4)
	v_add_f64_e32 v[14:15], v[14:15], v[98:99]
	v_add_f64_e32 v[10:11], v[30:31], v[10:11]
	v_mul_f64_e32 v[30:31], s[16:17], v[185:186]
	v_mul_f64_e32 v[185:186], s[14:15], v[213:214]
	s_delay_alu instid0(VALU_DEP_2) | instskip(NEXT) | instid1(VALU_DEP_1)
	v_fma_f64 v[36:37], v[177:178], s[10:11], v[30:31]
	v_add_f64_e32 v[16:17], v[36:37], v[16:17]
	v_mul_f64_e32 v[36:37], s[22:23], v[213:214]
	v_mul_f64_e32 v[213:214], s[50:51], v[215:216]
	s_delay_alu instid0(VALU_DEP_2) | instskip(NEXT) | instid1(VALU_DEP_1)
	v_fma_f64 v[46:47], v[189:190], s[18:19], -v[36:37]
	v_add_f64_e32 v[10:11], v[46:47], v[10:11]
	v_mul_f64_e32 v[46:47], s[22:23], v[195:196]
	s_delay_alu instid0(VALU_DEP_1) | instskip(NEXT) | instid1(VALU_DEP_1)
	v_fma_f64 v[48:49], v[183:184], s[18:19], v[46:47]
	v_add_f64_e32 v[16:17], v[48:49], v[16:17]
	v_mul_f64_e32 v[48:49], s[44:45], v[217:218]
	s_delay_alu instid0(VALU_DEP_1) | instskip(NEXT) | instid1(VALU_DEP_1)
	v_fma_f64 v[54:55], v[193:194], s[34:35], -v[48:49]
	v_add_f64_e32 v[10:11], v[54:55], v[10:11]
	v_mul_f64_e32 v[54:55], s[44:45], v[209:210]
	v_mul_f64_e32 v[209:210], s[50:51], v[221:222]
	s_delay_alu instid0(VALU_DEP_2) | instskip(NEXT) | instid1(VALU_DEP_1)
	v_fma_f64 v[58:59], v[191:192], s[34:35], v[54:55]
	v_add_f64_e32 v[16:17], v[58:59], v[16:17]
	v_mul_f64_e32 v[58:59], s[28:29], v[221:222]
	v_mul_f64_e32 v[221:222], s[16:17], v[223:224]
	s_delay_alu instid0(VALU_DEP_2) | instskip(NEXT) | instid1(VALU_DEP_1)
	v_fma_f64 v[92:93], v[201:202], s[20:21], -v[58:59]
	v_add_f64_e32 v[10:11], v[92:93], v[10:11]
	v_mul_f64_e32 v[92:93], s[28:29], v[215:216]
	v_mul_f64_e32 v[215:216], s[38:39], v[225:226]
	s_delay_alu instid0(VALU_DEP_2) | instskip(NEXT) | instid1(VALU_DEP_1)
	v_fma_f64 v[136:137], v[197:198], s[20:21], v[92:93]
	v_add_f64_e32 v[16:17], v[136:137], v[16:17]
	v_fma_f64 v[136:137], v[205:206], s[2:3], -v[148:149]
	s_delay_alu instid0(VALU_DEP_1) | instskip(SKIP_1) | instid1(VALU_DEP_1)
	v_add_f64_e32 v[10:11], v[136:137], v[10:11]
	v_fma_f64 v[136:137], v[203:204], s[2:3], v[150:151]
	v_add_f64_e32 v[16:17], v[136:137], v[16:17]
	v_fma_f64 v[136:137], v[211:212], s[26:27], -v[229:230]
	s_delay_alu instid0(VALU_DEP_1) | instskip(SKIP_1) | instid1(VALU_DEP_1)
	v_add_f64_e32 v[138:139], v[136:137], v[10:11]
	v_mul_f64_e32 v[10:11], s[40:41], v[223:224]
	v_fma_f64 v[136:137], v[207:208], s[26:27], v[10:11]
	v_fma_f64 v[10:11], v[207:208], s[26:27], -v[10:11]
	s_delay_alu instid0(VALU_DEP_2)
	v_add_f64_e32 v[136:137], v[136:137], v[16:17]
	v_mul_f64_e32 v[16:17], s[44:45], v[187:188]
	v_mul_f64_e32 v[187:188], s[14:15], v[195:196]
	;; [unrolled: 1-line block ×5, first 2 shown]
	v_fma_f64 v[140:141], v[174:175], s[34:35], -v[16:17]
	v_fma_f64 v[16:17], v[174:175], s[34:35], v[16:17]
	s_delay_alu instid0(VALU_DEP_2) | instskip(NEXT) | instid1(VALU_DEP_2)
	v_add_f64_e32 v[96:97], v[140:141], v[96:97]
	v_add_f64_e32 v[16:17], v[16:17], v[40:41]
	v_fma_f64 v[40:41], v[172:173], s[34:35], -v[144:145]
	v_fma_f64 v[140:141], v[172:173], s[34:35], v[144:145]
	s_delay_alu instid0(VALU_DEP_2) | instskip(SKIP_1) | instid1(VALU_DEP_3)
	v_add_f64_e32 v[40:41], v[40:41], v[50:51]
	v_fma_f64 v[50:51], v[181:182], s[24:25], v[146:147]
	v_add_f64_e32 v[52:53], v[140:141], v[52:53]
	v_fma_f64 v[140:141], v[181:182], s[24:25], -v[146:147]
	s_delay_alu instid0(VALU_DEP_3) | instskip(SKIP_1) | instid1(VALU_DEP_3)
	v_add_f64_e32 v[16:17], v[50:51], v[16:17]
	v_fma_f64 v[50:51], v[177:178], s[24:25], -v[179:180]
	v_add_f64_e32 v[96:97], v[140:141], v[96:97]
	v_fma_f64 v[140:141], v[177:178], s[24:25], v[179:180]
	s_delay_alu instid0(VALU_DEP_3) | instskip(SKIP_1) | instid1(VALU_DEP_3)
	v_add_f64_e32 v[40:41], v[50:51], v[40:41]
	v_fma_f64 v[50:51], v[189:190], s[2:3], v[185:186]
	v_add_f64_e32 v[52:53], v[140:141], v[52:53]
	v_fma_f64 v[140:141], v[189:190], s[2:3], -v[185:186]
	s_delay_alu instid0(VALU_DEP_3) | instskip(SKIP_1) | instid1(VALU_DEP_3)
	v_add_f64_e32 v[16:17], v[50:51], v[16:17]
	v_fma_f64 v[50:51], v[183:184], s[2:3], -v[187:188]
	v_add_f64_e32 v[96:97], v[140:141], v[96:97]
	v_fma_f64 v[140:141], v[183:184], s[2:3], v[187:188]
	s_delay_alu instid0(VALU_DEP_3) | instskip(SKIP_1) | instid1(VALU_DEP_3)
	;; [unrolled: 10-line block ×5, first 2 shown]
	v_add_f64_e32 v[40:41], v[50:51], v[40:41]
	v_fma_f64 v[50:51], v[211:212], s[10:11], v[219:220]
	v_add_f64_e32 v[52:53], v[140:141], v[52:53]
	v_fma_f64 v[140:141], v[211:212], s[10:11], -v[219:220]
	s_delay_alu instid0(VALU_DEP_3) | instskip(SKIP_1) | instid1(VALU_DEP_3)
	v_add_f64_e32 v[146:147], v[50:51], v[16:17]
	v_fma_f64 v[16:17], v[181:182], s[10:11], v[28:29]
	v_add_f64_e32 v[142:143], v[140:141], v[96:97]
	v_fma_f64 v[96:97], v[207:208], s[10:11], v[221:222]
	s_delay_alu instid0(VALU_DEP_3) | instskip(SKIP_1) | instid1(VALU_DEP_3)
	v_add_f64_e32 v[8:9], v[16:17], v[8:9]
	v_fma_f64 v[16:17], v[177:178], s[10:11], -v[30:31]
	v_add_f64_e32 v[140:141], v[96:97], v[52:53]
	v_fma_f64 v[52:53], v[207:208], s[10:11], -v[221:222]
	s_delay_alu instid0(VALU_DEP_3) | instskip(SKIP_1) | instid1(VALU_DEP_3)
	v_add_f64_e32 v[14:15], v[16:17], v[14:15]
	v_fma_f64 v[16:17], v[189:190], s[18:19], v[36:37]
	v_add_f64_e32 v[144:145], v[52:53], v[40:41]
	s_delay_alu instid0(VALU_DEP_2) | instskip(SKIP_1) | instid1(VALU_DEP_1)
	v_add_f64_e32 v[8:9], v[16:17], v[8:9]
	v_fma_f64 v[16:17], v[183:184], s[18:19], -v[46:47]
	v_add_f64_e32 v[14:15], v[16:17], v[14:15]
	v_fma_f64 v[16:17], v[193:194], s[34:35], v[48:49]
	s_delay_alu instid0(VALU_DEP_1) | instskip(SKIP_1) | instid1(VALU_DEP_1)
	v_add_f64_e32 v[8:9], v[16:17], v[8:9]
	v_fma_f64 v[16:17], v[191:192], s[34:35], -v[54:55]
	v_add_f64_e32 v[14:15], v[16:17], v[14:15]
	v_fma_f64 v[16:17], v[201:202], s[20:21], v[58:59]
	s_delay_alu instid0(VALU_DEP_1) | instskip(SKIP_1) | instid1(VALU_DEP_1)
	;; [unrolled: 5-line block ×3, first 2 shown]
	v_add_f64_e32 v[8:9], v[16:17], v[8:9]
	v_fma_f64 v[16:17], v[203:204], s[2:3], -v[150:151]
	v_add_f64_e32 v[14:15], v[16:17], v[14:15]
	v_fma_f64 v[16:17], v[211:212], s[26:27], v[229:230]
	s_delay_alu instid0(VALU_DEP_2) | instskip(NEXT) | instid1(VALU_DEP_2)
	v_add_f64_e32 v[148:149], v[10:11], v[14:15]
	v_add_f64_e32 v[150:151], v[16:17], v[8:9]
	v_fma_f64 v[8:9], v[174:175], s[24:25], v[12:13]
	v_fma_f64 v[10:11], v[172:173], s[24:25], -v[44:45]
	v_fma_f64 v[12:13], v[181:182], s[2:3], v[56:57]
	v_fma_f64 v[14:15], v[177:178], s[2:3], -v[152:153]
	v_fma_f64 v[16:17], v[189:190], s[30:31], v[154:155]
	v_add_f64_e32 v[8:9], v[8:9], v[38:39]
	v_add_f64_e32 v[10:11], v[10:11], v[94:95]
	s_delay_alu instid0(VALU_DEP_2) | instskip(SKIP_1) | instid1(VALU_DEP_3)
	v_add_f64_e32 v[8:9], v[12:13], v[8:9]
	v_fma_f64 v[12:13], v[183:184], s[30:31], -v[156:157]
	v_add_f64_e32 v[10:11], v[14:15], v[10:11]
	v_fma_f64 v[14:15], v[193:194], s[20:21], v[158:159]
	s_delay_alu instid0(VALU_DEP_4) | instskip(SKIP_1) | instid1(VALU_DEP_4)
	v_add_f64_e32 v[8:9], v[16:17], v[8:9]
	v_fma_f64 v[16:17], v[191:192], s[20:21], -v[160:161]
	v_add_f64_e32 v[10:11], v[12:13], v[10:11]
	v_fma_f64 v[12:13], v[201:202], s[10:11], v[162:163]
	s_delay_alu instid0(VALU_DEP_4) | instskip(SKIP_1) | instid1(VALU_DEP_4)
	;; [unrolled: 5-line block ×4, first 2 shown]
	v_add_f64_e32 v[8:9], v[16:17], v[8:9]
	v_fma_f64 v[16:17], v[207:208], s[18:19], -v[18:19]
	v_add_f64_e32 v[10:11], v[12:13], v[10:11]
	s_delay_alu instid0(VALU_DEP_3)
	v_add_f64_e32 v[154:155], v[14:15], v[8:9]
	s_clause 0x1
	scratch_load_b32 v8, off, off
	scratch_load_b32 v9, off, off offset:8 th:TH_LOAD_LU
	v_add_f64_e32 v[152:153], v[16:17], v[10:11]
	s_wait_loadcnt 0x1
	v_mul_lo_u16 v8, v8, 17
	s_delay_alu instid0(VALU_DEP_1) | instskip(SKIP_1) | instid1(VALU_DEP_1)
	v_and_b32_e32 v8, 0xffff, v8
	s_wait_loadcnt 0x0
	v_lshl_add_u32 v8, v8, 4, v9
	ds_store_b128 v8, v[0:3]
	ds_store_b128 v8, v[24:27] offset:16
	ds_store_b128 v8, v[136:139] offset:32
	;; [unrolled: 1-line block ×12, first 2 shown]
	scratch_load_b128 v[0:3], off, off offset:68 ; 16-byte Folded Reload
	s_wait_loadcnt 0x0
	ds_store_b128 v8, v[0:3] offset:208
	scratch_load_b128 v[0:3], off, off offset:52 ; 16-byte Folded Reload
	s_wait_loadcnt 0x0
	ds_store_b128 v8, v[0:3] offset:224
	ds_store_b128 v8, v[148:151] offset:240
	;; [unrolled: 1-line block ×3, first 2 shown]
.LBB0_17:
	s_wait_alu 0xfffe
	s_or_b32 exec_lo, exec_lo, s1
	global_wb scope:SCOPE_SE
	s_wait_dscnt 0x0
	s_barrier_signal -1
	s_barrier_wait -1
	global_inv scope:SCOPE_SE
	s_clause 0x1
	scratch_load_b128 v[6:9], off, off offset:84 th:TH_LOAD_LU
	scratch_load_b128 v[10:13], off, off offset:116 th:TH_LOAD_LU
	ds_load_b128 v[2:5], v243 offset:1360
	s_mov_b32 s34, 0x4267c47c
	s_mov_b32 s24, 0x42a4c3d2
	;; [unrolled: 1-line block ×26, first 2 shown]
	s_wait_alu 0xfffe
	s_mov_b32 s44, s24
	s_mov_b32 s42, s30
	;; [unrolled: 1-line block ×10, first 2 shown]
	scratch_load_b128 v[18:21], off, off offset:132 th:TH_LOAD_LU ; 16-byte Folded Reload
	s_wait_loadcnt_dscnt 0x200
	v_mul_f64_e32 v[0:1], v[8:9], v[4:5]
	s_delay_alu instid0(VALU_DEP_1) | instskip(SKIP_1) | instid1(VALU_DEP_1)
	v_fma_f64 v[0:1], v[6:7], v[2:3], v[0:1]
	v_mul_f64_e32 v[2:3], v[8:9], v[2:3]
	v_fma_f64 v[2:3], v[6:7], v[4:5], -v[2:3]
	ds_load_b128 v[4:7], v243 offset:2720
	s_wait_loadcnt_dscnt 0x100
	v_mul_f64_e32 v[8:9], v[12:13], v[4:5]
	s_delay_alu instid0(VALU_DEP_1) | instskip(SKIP_1) | instid1(VALU_DEP_1)
	v_fma_f64 v[112:113], v[10:11], v[6:7], -v[8:9]
	v_mul_f64_e32 v[6:7], v[12:13], v[6:7]
	v_fma_f64 v[114:115], v[10:11], v[4:5], v[6:7]
	scratch_load_b128 v[10:13], off, off offset:100 th:TH_LOAD_LU ; 16-byte Folded Reload
	ds_load_b128 v[4:7], v243 offset:16320
	s_wait_loadcnt_dscnt 0x0
	v_mul_f64_e32 v[8:9], v[12:13], v[4:5]
	s_delay_alu instid0(VALU_DEP_1) | instskip(SKIP_1) | instid1(VALU_DEP_1)
	v_fma_f64 v[16:17], v[10:11], v[6:7], -v[8:9]
	v_mul_f64_e32 v[6:7], v[12:13], v[6:7]
	v_fma_f64 v[12:13], v[10:11], v[4:5], v[6:7]
	ds_load_b128 v[4:7], v243 offset:14960
	s_wait_dscnt 0x0
	v_mul_f64_e32 v[8:9], v[20:21], v[4:5]
	v_add_f64_e32 v[24:25], v[0:1], v[12:13]
	s_delay_alu instid0(VALU_DEP_2)
	v_fma_f64 v[14:15], v[18:19], v[6:7], -v[8:9]
	v_mul_f64_e32 v[6:7], v[20:21], v[6:7]
	scratch_load_b128 v[20:23], off, off offset:148 th:TH_LOAD_LU ; 16-byte Folded Reload
	v_add_f64_e64 v[158:159], v[112:113], -v[14:15]
	v_fma_f64 v[18:19], v[18:19], v[4:5], v[6:7]
	ds_load_b128 v[4:7], v243 offset:4080
	v_add_f64_e32 v[160:161], v[112:113], v[14:15]
	v_mul_f64_e32 v[207:208], s[20:21], v[158:159]
	v_mul_f64_e32 v[225:226], s[28:29], v[158:159]
	s_wait_alu 0xfffe
	v_mul_f64_e32 v[247:248], s[38:39], v[158:159]
	s_delay_alu instid0(VALU_DEP_4) | instskip(SKIP_4) | instid1(VALU_DEP_1)
	v_mul_f64_e32 v[209:210], s[2:3], v[160:161]
	v_mul_f64_e32 v[249:250], s[16:17], v[160:161]
	;; [unrolled: 1-line block ×3, first 2 shown]
	s_wait_loadcnt_dscnt 0x0
	v_mul_f64_e32 v[8:9], v[22:23], v[6:7]
	v_fma_f64 v[116:117], v[20:21], v[4:5], v[8:9]
	v_mul_f64_e32 v[4:5], v[22:23], v[4:5]
	s_delay_alu instid0(VALU_DEP_1) | instskip(SKIP_4) | instid1(VALU_DEP_1)
	v_fma_f64 v[40:41], v[20:21], v[6:7], -v[4:5]
	scratch_load_b128 v[20:23], off, off offset:164 th:TH_LOAD_LU ; 16-byte Folded Reload
	ds_load_b128 v[4:7], v243 offset:13600
	s_wait_loadcnt_dscnt 0x0
	v_mul_f64_e32 v[8:9], v[22:23], v[6:7]
	v_fma_f64 v[36:37], v[20:21], v[4:5], v[8:9]
	v_mul_f64_e32 v[4:5], v[22:23], v[4:5]
	s_delay_alu instid0(VALU_DEP_2) | instskip(NEXT) | instid1(VALU_DEP_2)
	v_add_f64_e64 v[166:167], v[116:117], -v[36:37]
	v_fma_f64 v[38:39], v[20:21], v[6:7], -v[4:5]
	scratch_load_b128 v[20:23], off, off offset:180 th:TH_LOAD_LU ; 16-byte Folded Reload
	ds_load_b128 v[4:7], v243 offset:5440
	v_add_f64_e64 v[162:163], v[40:41], -v[38:39]
	v_add_f64_e32 v[164:165], v[40:41], v[38:39]
	s_delay_alu instid0(VALU_DEP_2) | instskip(NEXT) | instid1(VALU_DEP_2)
	v_mul_f64_e32 v[227:228], s[40:41], v[162:163]
	v_mul_f64_e32 v[168:169], s[14:15], v[164:165]
	;; [unrolled: 1-line block ×7, first 2 shown]
	s_wait_loadcnt_dscnt 0x0
	v_mul_f64_e32 v[8:9], v[22:23], v[6:7]
	s_delay_alu instid0(VALU_DEP_1) | instskip(SKIP_1) | instid1(VALU_DEP_1)
	v_fma_f64 v[46:47], v[20:21], v[4:5], v[8:9]
	v_mul_f64_e32 v[4:5], v[22:23], v[4:5]
	v_fma_f64 v[48:49], v[20:21], v[6:7], -v[4:5]
	scratch_load_b128 v[20:23], off, off offset:196 th:TH_LOAD_LU ; 16-byte Folded Reload
	ds_load_b128 v[4:7], v243 offset:12240
	s_wait_loadcnt_dscnt 0x0
	v_mul_f64_e32 v[8:9], v[22:23], v[6:7]
	s_delay_alu instid0(VALU_DEP_1) | instskip(SKIP_1) | instid1(VALU_DEP_2)
	v_fma_f64 v[42:43], v[20:21], v[4:5], v[8:9]
	v_mul_f64_e32 v[4:5], v[22:23], v[4:5]
	v_add_f64_e32 v[172:173], v[46:47], v[42:43]
	s_delay_alu instid0(VALU_DEP_2)
	v_fma_f64 v[44:45], v[20:21], v[6:7], -v[4:5]
	scratch_load_b128 v[20:23], off, off offset:212 th:TH_LOAD_LU ; 16-byte Folded Reload
	ds_load_b128 v[4:7], v243 offset:6800
	v_add_f64_e64 v[179:180], v[46:47], -v[42:43]
	v_add_f64_e64 v[170:171], v[48:49], -v[44:45]
	v_add_f64_e32 v[177:178], v[48:49], v[44:45]
	s_delay_alu instid0(VALU_DEP_2) | instskip(NEXT) | instid1(VALU_DEP_2)
	v_mul_f64_e32 v[174:175], s[20:21], v[170:171]
	v_mul_f64_e32 v[181:182], s[2:3], v[177:178]
	;; [unrolled: 1-line block ×9, first 2 shown]
	s_delay_alu instid0(VALU_DEP_3) | instskip(NEXT) | instid1(VALU_DEP_3)
	v_fma_f64 v[34:35], v[172:173], s[14:15], v[32:33]
	v_fma_f64 v[106:107], v[179:180], s[42:43], v[104:105]
	s_delay_alu instid0(VALU_DEP_3) | instskip(SKIP_3) | instid1(VALU_DEP_1)
	v_fma_f64 v[74:75], v[172:173], s[22:23], v[72:73]
	v_fma_f64 v[32:33], v[172:173], s[14:15], -v[32:33]
	s_wait_loadcnt_dscnt 0x0
	v_mul_f64_e32 v[8:9], v[22:23], v[6:7]
	v_fma_f64 v[52:53], v[20:21], v[4:5], v[8:9]
	v_mul_f64_e32 v[4:5], v[22:23], v[4:5]
	s_delay_alu instid0(VALU_DEP_1) | instskip(SKIP_4) | instid1(VALU_DEP_1)
	v_fma_f64 v[56:57], v[20:21], v[6:7], -v[4:5]
	scratch_load_b128 v[20:23], off, off offset:340 th:TH_LOAD_LU ; 16-byte Folded Reload
	ds_load_b128 v[4:7], v243 offset:10880
	s_wait_dscnt 0x0
	v_mul_f64_e32 v[8:9], v[102:103], v[6:7]
	v_fma_f64 v[50:51], v[100:101], v[4:5], v[8:9]
	v_mul_f64_e32 v[4:5], v[102:103], v[4:5]
	v_add_f64_e64 v[102:103], v[0:1], -v[12:13]
	s_delay_alu instid0(VALU_DEP_3) | instskip(NEXT) | instid1(VALU_DEP_3)
	v_add_f64_e32 v[185:186], v[52:53], v[50:51]
	v_fma_f64 v[54:55], v[100:101], v[6:7], -v[4:5]
	ds_load_b128 v[4:7], v243 offset:8160
	v_add_f64_e64 v[191:192], v[52:53], -v[50:51]
	v_add_f64_e64 v[183:184], v[56:57], -v[54:55]
	v_add_f64_e32 v[189:190], v[56:57], v[54:55]
	s_delay_alu instid0(VALU_DEP_2) | instskip(NEXT) | instid1(VALU_DEP_2)
	v_mul_f64_e32 v[187:188], s[26:27], v[183:184]
	v_mul_f64_e32 v[193:194], s[16:17], v[189:190]
	;; [unrolled: 1-line block ×8, first 2 shown]
	s_delay_alu instid0(VALU_DEP_2) | instskip(NEXT) | instid1(VALU_DEP_2)
	v_fma_f64 v[110:111], v[185:186], s[22:23], v[108:109]
	v_fma_f64 v[78:79], v[185:186], s[18:19], v[76:77]
	s_wait_loadcnt_dscnt 0x0
	v_mul_f64_e32 v[8:9], v[22:23], v[6:7]
	s_delay_alu instid0(VALU_DEP_1) | instskip(SKIP_1) | instid1(VALU_DEP_1)
	v_fma_f64 v[58:59], v[20:21], v[4:5], v[8:9]
	v_mul_f64_e32 v[4:5], v[22:23], v[4:5]
	v_fma_f64 v[96:97], v[20:21], v[6:7], -v[4:5]
	scratch_load_b128 v[20:23], off, off offset:324 th:TH_LOAD_LU ; 16-byte Folded Reload
	ds_load_b128 v[4:7], v243 offset:9520
	s_wait_loadcnt_dscnt 0x0
	v_mul_f64_e32 v[8:9], v[22:23], v[6:7]
	s_delay_alu instid0(VALU_DEP_1) | instskip(SKIP_1) | instid1(VALU_DEP_2)
	v_fma_f64 v[98:99], v[20:21], v[4:5], v[8:9]
	v_mul_f64_e32 v[4:5], v[22:23], v[4:5]
	v_add_f64_e32 v[197:198], v[58:59], v[98:99]
	s_delay_alu instid0(VALU_DEP_2) | instskip(SKIP_2) | instid1(VALU_DEP_3)
	v_fma_f64 v[92:93], v[20:21], v[6:7], -v[4:5]
	v_add_f64_e64 v[4:5], v[2:3], -v[16:17]
	v_add_f64_e64 v[203:204], v[58:59], -v[98:99]
	v_add_f64_e64 v[195:196], v[96:97], -v[92:93]
	s_delay_alu instid0(VALU_DEP_3)
	v_mul_f64_e32 v[6:7], s[34:35], v[4:5]
	v_mul_f64_e32 v[8:9], s[24:25], v[4:5]
	;; [unrolled: 1-line block ×6, first 2 shown]
	v_add_f64_e32 v[201:202], v[96:97], v[92:93]
	v_mul_f64_e32 v[199:200], s[28:29], v[195:196]
	v_fma_f64 v[26:27], v[24:25], s[18:19], v[6:7]
	v_fma_f64 v[6:7], v[24:25], s[18:19], -v[6:7]
	v_fma_f64 v[28:29], v[24:25], s[10:11], v[8:9]
	v_fma_f64 v[8:9], v[24:25], s[10:11], -v[8:9]
	;; [unrolled: 2-line block ×6, first 2 shown]
	v_add_f64_e32 v[4:5], v[2:3], v[16:17]
	v_mul_f64_e32 v[205:206], s[22:23], v[201:202]
	v_mul_f64_e32 v[221:222], s[46:47], v[195:196]
	;; [unrolled: 1-line block ×13, first 2 shown]
	v_fma_f64 v[62:63], v[197:198], s[10:11], v[60:61]
	v_fma_f64 v[82:83], v[197:198], s[2:3], v[80:81]
	v_fma_f64 v[60:61], v[197:198], s[10:11], -v[60:61]
	v_fma_f64 v[138:139], v[102:103], s[30:31], v[22:23]
	v_fma_f64 v[132:133], v[102:103], s[44:45], v[20:21]
	v_fma_f64 v[134:135], v[102:103], s[24:25], v[20:21]
	v_fma_f64 v[136:137], v[102:103], s[42:43], v[22:23]
	ds_load_b128 v[20:23], v243
	v_fma_f64 v[118:119], v[102:103], s[34:35], v[10:11]
	v_fma_f64 v[10:11], v[102:103], s[46:47], v[10:11]
	;; [unrolled: 1-line block ×8, first 2 shown]
	global_wb scope:SCOPE_SE
	s_wait_dscnt 0x0
	s_barrier_signal -1
	s_barrier_wait -1
	global_inv scope:SCOPE_SE
	v_add_f64_e32 v[94:95], v[20:21], v[0:1]
	v_add_f64_e32 v[0:1], v[20:21], v[6:7]
	;; [unrolled: 1-line block ×13, first 2 shown]
	v_mul_f64_e32 v[122:123], s[24:25], v[158:159]
	v_add_f64_e32 v[28:29], v[22:23], v[132:133]
	v_add_f64_e32 v[136:137], v[22:23], v[136:137]
	;; [unrolled: 1-line block ×11, first 2 shown]
	v_add_f64_e64 v[124:125], v[114:115], -v[18:19]
	v_mul_f64_e32 v[126:127], s[10:11], v[160:161]
	v_mul_f64_e32 v[130:131], s[30:31], v[162:163]
	v_add_f64_e32 v[140:141], v[22:23], v[140:141]
	v_add_f64_e32 v[144:145], v[22:23], v[144:145]
	;; [unrolled: 1-line block ×4, first 2 shown]
	v_fma_f64 v[70:71], v[128:129], s[10:11], v[68:69]
	v_fma_f64 v[20:21], v[120:121], s[10:11], -v[122:123]
	v_fma_f64 v[22:23], v[124:125], s[40:41], v[209:210]
	v_fma_f64 v[66:67], v[124:125], s[30:31], v[64:65]
	;; [unrolled: 1-line block ×3, first 2 shown]
	s_delay_alu instid0(VALU_DEP_4)
	v_add_f64_e32 v[0:1], v[20:21], v[0:1]
	v_fma_f64 v[20:21], v[124:125], s[24:25], v[126:127]
	v_add_f64_e32 v[22:23], v[22:23], v[28:29]
	v_mul_f64_e32 v[28:29], s[28:29], v[162:163]
	v_add_f64_e32 v[66:67], v[66:67], v[144:145]
	v_add_f64_e32 v[64:65], v[64:65], v[154:155]
	;; [unrolled: 1-line block ×3, first 2 shown]
	v_fma_f64 v[20:21], v[128:129], s[14:15], -v[130:131]
	v_fma_f64 v[24:25], v[128:129], s[22:23], v[28:29]
	v_fma_f64 v[28:29], v[128:129], s[22:23], -v[28:29]
	s_delay_alu instid0(VALU_DEP_3) | instskip(SKIP_1) | instid1(VALU_DEP_1)
	v_add_f64_e32 v[0:1], v[20:21], v[0:1]
	v_fma_f64 v[20:21], v[166:167], s[30:31], v[168:169]
	v_add_f64_e32 v[2:3], v[20:21], v[2:3]
	v_fma_f64 v[20:21], v[172:173], s[2:3], -v[174:175]
	s_delay_alu instid0(VALU_DEP_1) | instskip(SKIP_1) | instid1(VALU_DEP_1)
	v_add_f64_e32 v[0:1], v[20:21], v[0:1]
	v_fma_f64 v[20:21], v[179:180], s[20:21], v[181:182]
	v_add_f64_e32 v[2:3], v[20:21], v[2:3]
	v_fma_f64 v[20:21], v[185:186], s[16:17], -v[187:188]
	s_delay_alu instid0(VALU_DEP_1) | instskip(SKIP_1) | instid1(VALU_DEP_1)
	;; [unrolled: 5-line block ×3, first 2 shown]
	v_add_f64_e32 v[0:1], v[20:21], v[0:1]
	v_fma_f64 v[20:21], v[203:204], s[28:29], v[205:206]
	v_add_f64_e32 v[2:3], v[20:21], v[2:3]
	v_fma_f64 v[20:21], v[120:121], s[2:3], v[207:208]
	s_delay_alu instid0(VALU_DEP_1) | instskip(NEXT) | instid1(VALU_DEP_1)
	v_add_f64_e32 v[20:21], v[20:21], v[26:27]
	v_add_f64_e32 v[20:21], v[24:25], v[20:21]
	v_fma_f64 v[24:25], v[166:167], s[36:37], v[211:212]
	s_delay_alu instid0(VALU_DEP_1) | instskip(SKIP_1) | instid1(VALU_DEP_1)
	v_add_f64_e32 v[22:23], v[24:25], v[22:23]
	v_fma_f64 v[24:25], v[172:173], s[16:17], v[213:214]
	v_add_f64_e32 v[20:21], v[24:25], v[20:21]
	v_fma_f64 v[24:25], v[179:180], s[26:27], v[215:216]
	s_delay_alu instid0(VALU_DEP_1) | instskip(SKIP_1) | instid1(VALU_DEP_1)
	v_add_f64_e32 v[22:23], v[24:25], v[22:23]
	v_fma_f64 v[24:25], v[185:186], s[14:15], v[217:218]
	;; [unrolled: 5-line block ×4, first 2 shown]
	v_add_f64_e32 v[24:25], v[24:25], v[30:31]
	v_mul_f64_e32 v[30:31], s[22:23], v[160:161]
	s_delay_alu instid0(VALU_DEP_1) | instskip(SKIP_1) | instid1(VALU_DEP_2)
	v_fma_f64 v[26:27], v[124:125], s[36:37], v[30:31]
	v_fma_f64 v[30:31], v[124:125], s[28:29], v[30:31]
	v_add_f64_e32 v[26:27], v[26:27], v[136:137]
	v_fma_f64 v[136:137], v[128:129], s[2:3], v[227:228]
	s_delay_alu instid0(VALU_DEP_3) | instskip(SKIP_1) | instid1(VALU_DEP_3)
	v_add_f64_e32 v[4:5], v[30:31], v[4:5]
	v_fma_f64 v[30:31], v[128:129], s[2:3], -v[227:228]
	v_add_f64_e32 v[24:25], v[136:137], v[24:25]
	v_fma_f64 v[136:137], v[166:167], s[20:21], v[229:230]
	s_delay_alu instid0(VALU_DEP_1) | instskip(SKIP_1) | instid1(VALU_DEP_1)
	v_add_f64_e32 v[26:27], v[136:137], v[26:27]
	v_fma_f64 v[136:137], v[172:173], s[18:19], v[231:232]
	v_add_f64_e32 v[24:25], v[136:137], v[24:25]
	v_fma_f64 v[136:137], v[179:180], s[34:35], v[233:234]
	s_delay_alu instid0(VALU_DEP_1) | instskip(SKIP_1) | instid1(VALU_DEP_1)
	v_add_f64_e32 v[26:27], v[136:137], v[26:27]
	v_fma_f64 v[136:137], v[185:186], s[10:11], v[235:236]
	;; [unrolled: 5-line block ×5, first 2 shown]
	v_add_f64_e32 v[136:137], v[140:141], v[136:137]
	v_fma_f64 v[140:141], v[166:167], s[34:35], v[253:254]
	s_delay_alu instid0(VALU_DEP_2) | instskip(NEXT) | instid1(VALU_DEP_2)
	v_add_f64_e32 v[34:35], v[34:35], v[136:137]
	v_add_f64_e32 v[138:139], v[140:141], v[138:139]
	s_delay_alu instid0(VALU_DEP_2) | instskip(SKIP_1) | instid1(VALU_DEP_3)
	v_add_f64_e32 v[34:35], v[110:111], v[34:35]
	v_mul_f64_e32 v[110:111], s[22:23], v[189:190]
	v_add_f64_e32 v[106:107], v[106:107], v[138:139]
	s_delay_alu instid0(VALU_DEP_2) | instskip(NEXT) | instid1(VALU_DEP_1)
	v_fma_f64 v[136:137], v[191:192], s[28:29], v[110:111]
	v_add_f64_e32 v[106:107], v[136:137], v[106:107]
	v_add_f64_e32 v[136:137], v[62:63], v[34:35]
	v_mul_f64_e32 v[34:35], s[10:11], v[201:202]
	s_delay_alu instid0(VALU_DEP_1) | instskip(SKIP_1) | instid1(VALU_DEP_2)
	v_fma_f64 v[62:63], v[203:204], s[24:25], v[34:35]
	v_fma_f64 v[34:35], v[203:204], s[44:45], v[34:35]
	v_add_f64_e32 v[138:139], v[62:63], v[106:107]
	v_mul_f64_e32 v[62:63], s[42:43], v[158:159]
	s_delay_alu instid0(VALU_DEP_1) | instskip(SKIP_1) | instid1(VALU_DEP_2)
	v_fma_f64 v[106:107], v[120:121], s[14:15], v[62:63]
	v_fma_f64 v[62:63], v[120:121], s[14:15], -v[62:63]
	v_add_f64_e32 v[106:107], v[106:107], v[142:143]
	s_delay_alu instid0(VALU_DEP_2) | instskip(NEXT) | instid1(VALU_DEP_2)
	v_add_f64_e32 v[62:63], v[62:63], v[152:153]
	v_add_f64_e32 v[70:71], v[70:71], v[106:107]
	v_mul_f64_e32 v[106:107], s[10:11], v[164:165]
	s_delay_alu instid0(VALU_DEP_2) | instskip(NEXT) | instid1(VALU_DEP_2)
	v_add_f64_e32 v[70:71], v[74:75], v[70:71]
	v_fma_f64 v[140:141], v[166:167], s[44:45], v[106:107]
	v_mul_f64_e32 v[74:75], s[22:23], v[177:178]
	s_delay_alu instid0(VALU_DEP_3) | instskip(NEXT) | instid1(VALU_DEP_3)
	v_add_f64_e32 v[70:71], v[78:79], v[70:71]
	v_add_f64_e32 v[66:67], v[140:141], v[66:67]
	s_delay_alu instid0(VALU_DEP_3) | instskip(SKIP_1) | instid1(VALU_DEP_2)
	v_fma_f64 v[140:141], v[179:180], s[28:29], v[74:75]
	v_mul_f64_e32 v[78:79], s[18:19], v[189:190]
	v_add_f64_e32 v[66:67], v[140:141], v[66:67]
	s_delay_alu instid0(VALU_DEP_2) | instskip(NEXT) | instid1(VALU_DEP_1)
	v_fma_f64 v[140:141], v[191:192], s[34:35], v[78:79]
	v_add_f64_e32 v[66:67], v[140:141], v[66:67]
	v_add_f64_e32 v[140:141], v[82:83], v[70:71]
	v_mul_f64_e32 v[70:71], s[2:3], v[201:202]
	s_delay_alu instid0(VALU_DEP_1) | instskip(NEXT) | instid1(VALU_DEP_1)
	v_fma_f64 v[82:83], v[203:204], s[40:41], v[70:71]
	v_add_f64_e32 v[142:143], v[82:83], v[66:67]
	v_mul_f64_e32 v[66:67], s[46:47], v[158:159]
	v_mul_f64_e32 v[158:159], s[18:19], v[160:161]
	;; [unrolled: 1-line block ×6, first 2 shown]
	v_fma_f64 v[82:83], v[120:121], s[18:19], v[66:67]
	v_fma_f64 v[144:145], v[124:125], s[34:35], v[158:159]
	v_fma_f64 v[66:67], v[120:121], s[18:19], -v[66:67]
	s_delay_alu instid0(VALU_DEP_3) | instskip(NEXT) | instid1(VALU_DEP_3)
	v_add_f64_e32 v[82:83], v[82:83], v[146:147]
	v_add_f64_e32 v[144:145], v[144:145], v[148:149]
	v_mul_f64_e32 v[148:149], s[26:27], v[162:163]
	v_mul_f64_e32 v[162:163], s[44:45], v[170:171]
	;; [unrolled: 1-line block ×4, first 2 shown]
	v_add_f64_e32 v[66:67], v[66:67], v[156:157]
	v_fma_f64 v[146:147], v[128:129], s[16:17], v[148:149]
	v_fma_f64 v[148:149], v[128:129], s[16:17], -v[148:149]
	s_delay_alu instid0(VALU_DEP_2) | instskip(SKIP_1) | instid1(VALU_DEP_3)
	v_add_f64_e32 v[82:83], v[146:147], v[82:83]
	v_fma_f64 v[146:147], v[166:167], s[38:39], v[160:161]
	v_add_f64_e32 v[66:67], v[148:149], v[66:67]
	v_fma_f64 v[148:149], v[166:167], s[26:27], v[160:161]
	s_delay_alu instid0(VALU_DEP_3) | instskip(SKIP_1) | instid1(VALU_DEP_1)
	v_add_f64_e32 v[144:145], v[146:147], v[144:145]
	v_fma_f64 v[146:147], v[172:173], s[10:11], v[162:163]
	v_add_f64_e32 v[82:83], v[146:147], v[82:83]
	v_fma_f64 v[146:147], v[179:180], s[24:25], v[164:165]
	s_delay_alu instid0(VALU_DEP_1) | instskip(SKIP_1) | instid1(VALU_DEP_1)
	v_add_f64_e32 v[144:145], v[146:147], v[144:145]
	v_fma_f64 v[146:147], v[185:186], s[2:3], v[170:171]
	v_add_f64_e32 v[82:83], v[146:147], v[82:83]
	v_fma_f64 v[146:147], v[191:192], s[40:41], v[177:178]
	s_delay_alu instid0(VALU_DEP_1) | instskip(SKIP_1) | instid1(VALU_DEP_1)
	v_add_f64_e32 v[146:147], v[146:147], v[144:145]
	v_fma_f64 v[144:145], v[197:198], s[14:15], v[183:184]
	v_add_f64_e32 v[144:145], v[144:145], v[82:83]
	v_fma_f64 v[82:83], v[203:204], s[30:31], v[189:190]
	s_delay_alu instid0(VALU_DEP_1)
	v_add_f64_e32 v[146:147], v[82:83], v[146:147]
	v_fma_f64 v[82:83], v[124:125], s[46:47], v[158:159]
	ds_store_b128 v244, v[20:23] offset:544
	ds_store_b128 v244, v[24:27] offset:816
	;; [unrolled: 1-line block ×5, first 2 shown]
	v_add_f64_e32 v[82:83], v[82:83], v[150:151]
	v_fma_f64 v[150:151], v[203:204], s[42:43], v[189:190]
	s_delay_alu instid0(VALU_DEP_2) | instskip(SKIP_1) | instid1(VALU_DEP_1)
	v_add_f64_e32 v[82:83], v[148:149], v[82:83]
	v_fma_f64 v[148:149], v[172:173], s[10:11], -v[162:163]
	v_add_f64_e32 v[66:67], v[148:149], v[66:67]
	v_fma_f64 v[148:149], v[179:180], s[44:45], v[164:165]
	s_delay_alu instid0(VALU_DEP_1) | instskip(SKIP_1) | instid1(VALU_DEP_1)
	v_add_f64_e32 v[82:83], v[148:149], v[82:83]
	v_fma_f64 v[148:149], v[185:186], s[2:3], -v[170:171]
	v_add_f64_e32 v[66:67], v[148:149], v[66:67]
	v_fma_f64 v[148:149], v[191:192], s[20:21], v[177:178]
	s_delay_alu instid0(VALU_DEP_1) | instskip(SKIP_1) | instid1(VALU_DEP_2)
	v_add_f64_e32 v[82:83], v[148:149], v[82:83]
	v_fma_f64 v[148:149], v[197:198], s[14:15], -v[183:184]
	v_add_f64_e32 v[150:151], v[150:151], v[82:83]
	s_delay_alu instid0(VALU_DEP_2) | instskip(SKIP_2) | instid1(VALU_DEP_2)
	v_add_f64_e32 v[148:149], v[148:149], v[66:67]
	v_fma_f64 v[66:67], v[128:129], s[10:11], -v[68:69]
	v_fma_f64 v[68:69], v[203:204], s[20:21], v[70:71]
	v_add_f64_e32 v[62:63], v[66:67], v[62:63]
	v_fma_f64 v[66:67], v[166:167], s[24:25], v[106:107]
	s_delay_alu instid0(VALU_DEP_1) | instskip(SKIP_1) | instid1(VALU_DEP_1)
	v_add_f64_e32 v[64:65], v[66:67], v[64:65]
	v_fma_f64 v[66:67], v[172:173], s[22:23], -v[72:73]
	v_add_f64_e32 v[62:63], v[66:67], v[62:63]
	v_fma_f64 v[66:67], v[179:180], s[36:37], v[74:75]
	s_delay_alu instid0(VALU_DEP_1) | instskip(SKIP_1) | instid1(VALU_DEP_1)
	v_add_f64_e32 v[64:65], v[66:67], v[64:65]
	v_fma_f64 v[66:67], v[185:186], s[18:19], -v[76:77]
	v_add_f64_e32 v[62:63], v[66:67], v[62:63]
	v_fma_f64 v[66:67], v[191:192], s[46:47], v[78:79]
	s_delay_alu instid0(VALU_DEP_1) | instskip(SKIP_1) | instid1(VALU_DEP_2)
	v_add_f64_e32 v[64:65], v[66:67], v[64:65]
	v_fma_f64 v[66:67], v[197:198], s[2:3], -v[80:81]
	v_add_f64_e32 v[154:155], v[68:69], v[64:65]
	s_delay_alu instid0(VALU_DEP_2) | instskip(SKIP_3) | instid1(VALU_DEP_3)
	v_add_f64_e32 v[152:153], v[66:67], v[62:63]
	v_fma_f64 v[62:63], v[120:121], s[16:17], -v[247:248]
	v_fma_f64 v[64:65], v[124:125], s[38:39], v[249:250]
	v_fma_f64 v[66:67], v[128:129], s[18:19], -v[251:252]
	v_add_f64_e32 v[62:63], v[62:63], v[134:135]
	s_delay_alu instid0(VALU_DEP_3) | instskip(NEXT) | instid1(VALU_DEP_2)
	v_add_f64_e32 v[64:65], v[64:65], v[132:133]
	v_add_f64_e32 v[62:63], v[66:67], v[62:63]
	v_fma_f64 v[66:67], v[166:167], s[46:47], v[253:254]
	s_delay_alu instid0(VALU_DEP_2) | instskip(NEXT) | instid1(VALU_DEP_2)
	v_add_f64_e32 v[32:33], v[32:33], v[62:63]
	v_add_f64_e32 v[64:65], v[66:67], v[64:65]
	v_fma_f64 v[62:63], v[179:180], s[30:31], v[104:105]
	s_delay_alu instid0(VALU_DEP_1) | instskip(SKIP_1) | instid1(VALU_DEP_1)
	v_add_f64_e32 v[62:63], v[62:63], v[64:65]
	v_fma_f64 v[64:65], v[185:186], s[22:23], -v[108:109]
	v_add_f64_e32 v[32:33], v[64:65], v[32:33]
	v_fma_f64 v[64:65], v[191:192], s[36:37], v[110:111]
	s_delay_alu instid0(VALU_DEP_2) | instskip(SKIP_1) | instid1(VALU_DEP_3)
	v_add_f64_e32 v[132:133], v[60:61], v[32:33]
	v_fma_f64 v[32:33], v[120:121], s[22:23], -v[225:226]
	v_add_f64_e32 v[62:63], v[64:65], v[62:63]
	v_fma_f64 v[60:61], v[172:173], s[2:3], v[174:175]
	s_delay_alu instid0(VALU_DEP_3) | instskip(SKIP_1) | instid1(VALU_DEP_4)
	v_add_f64_e32 v[6:7], v[32:33], v[6:7]
	v_fma_f64 v[32:33], v[203:204], s[26:27], v[241:242]
	v_add_f64_e32 v[134:135], v[34:35], v[62:63]
	v_fma_f64 v[34:35], v[166:167], s[42:43], v[168:169]
	s_delay_alu instid0(VALU_DEP_4) | instskip(SKIP_1) | instid1(VALU_DEP_1)
	v_add_f64_e32 v[6:7], v[30:31], v[6:7]
	v_fma_f64 v[30:31], v[166:167], s[40:41], v[229:230]
	v_add_f64_e32 v[4:5], v[30:31], v[4:5]
	v_fma_f64 v[30:31], v[172:173], s[18:19], -v[231:232]
	s_delay_alu instid0(VALU_DEP_1) | instskip(SKIP_1) | instid1(VALU_DEP_1)
	v_add_f64_e32 v[6:7], v[30:31], v[6:7]
	v_fma_f64 v[30:31], v[179:180], s[46:47], v[233:234]
	v_add_f64_e32 v[4:5], v[30:31], v[4:5]
	v_fma_f64 v[30:31], v[185:186], s[10:11], -v[235:236]
	s_delay_alu instid0(VALU_DEP_1) | instskip(SKIP_1) | instid1(VALU_DEP_1)
	v_add_f64_e32 v[6:7], v[30:31], v[6:7]
	v_fma_f64 v[30:31], v[191:192], s[24:25], v[237:238]
	v_add_f64_e32 v[30:31], v[30:31], v[4:5]
	v_fma_f64 v[4:5], v[197:198], s[16:17], -v[239:240]
	s_delay_alu instid0(VALU_DEP_1) | instskip(NEXT) | instid1(VALU_DEP_3)
	v_add_f64_e32 v[4:5], v[4:5], v[6:7]
	v_add_f64_e32 v[6:7], v[32:33], v[30:31]
	v_fma_f64 v[30:31], v[120:121], s[2:3], -v[207:208]
	v_fma_f64 v[32:33], v[128:129], s[14:15], v[130:131]
	s_delay_alu instid0(VALU_DEP_2) | instskip(SKIP_1) | instid1(VALU_DEP_2)
	v_add_f64_e32 v[10:11], v[30:31], v[10:11]
	v_fma_f64 v[30:31], v[124:125], s[20:21], v[209:210]
	v_add_f64_e32 v[10:11], v[28:29], v[10:11]
	s_delay_alu instid0(VALU_DEP_2) | instskip(SKIP_2) | instid1(VALU_DEP_2)
	v_add_f64_e32 v[8:9], v[30:31], v[8:9]
	v_fma_f64 v[28:29], v[166:167], s[28:29], v[211:212]
	v_fma_f64 v[30:31], v[203:204], s[46:47], v[223:224]
	v_add_f64_e32 v[8:9], v[28:29], v[8:9]
	v_fma_f64 v[28:29], v[172:173], s[16:17], -v[213:214]
	s_delay_alu instid0(VALU_DEP_1) | instskip(SKIP_1) | instid1(VALU_DEP_1)
	v_add_f64_e32 v[10:11], v[28:29], v[10:11]
	v_fma_f64 v[28:29], v[179:180], s[38:39], v[215:216]
	v_add_f64_e32 v[8:9], v[28:29], v[8:9]
	v_fma_f64 v[28:29], v[185:186], s[14:15], -v[217:218]
	s_delay_alu instid0(VALU_DEP_1) | instskip(SKIP_1) | instid1(VALU_DEP_1)
	v_add_f64_e32 v[10:11], v[28:29], v[10:11]
	v_fma_f64 v[28:29], v[191:192], s[42:43], v[219:220]
	v_add_f64_e32 v[28:29], v[28:29], v[8:9]
	v_fma_f64 v[8:9], v[197:198], s[18:19], -v[221:222]
	s_delay_alu instid0(VALU_DEP_1) | instskip(NEXT) | instid1(VALU_DEP_3)
	v_add_f64_e32 v[8:9], v[8:9], v[10:11]
	v_add_f64_e32 v[10:11], v[30:31], v[28:29]
	v_fma_f64 v[28:29], v[120:121], s[10:11], v[122:123]
	v_fma_f64 v[30:31], v[124:125], s[44:45], v[126:127]
	s_delay_alu instid0(VALU_DEP_2) | instskip(NEXT) | instid1(VALU_DEP_2)
	v_add_f64_e32 v[28:29], v[28:29], v[102:103]
	v_add_f64_e32 v[30:31], v[30:31], v[118:119]
	s_delay_alu instid0(VALU_DEP_2) | instskip(SKIP_1) | instid1(VALU_DEP_3)
	v_add_f64_e32 v[28:29], v[32:33], v[28:29]
	v_fma_f64 v[32:33], v[179:180], s[40:41], v[181:182]
	v_add_f64_e32 v[30:31], v[34:35], v[30:31]
	v_fma_f64 v[34:35], v[185:186], s[16:17], v[187:188]
	s_delay_alu instid0(VALU_DEP_4) | instskip(SKIP_1) | instid1(VALU_DEP_4)
	v_add_f64_e32 v[28:29], v[60:61], v[28:29]
	v_fma_f64 v[60:61], v[191:192], s[38:39], v[193:194]
	v_add_f64_e32 v[30:31], v[32:33], v[30:31]
	v_fma_f64 v[32:33], v[197:198], s[22:23], v[199:200]
	s_delay_alu instid0(VALU_DEP_4) | instskip(SKIP_1) | instid1(VALU_DEP_4)
	v_add_f64_e32 v[28:29], v[34:35], v[28:29]
	v_fma_f64 v[34:35], v[203:204], s[36:37], v[205:206]
	v_add_f64_e32 v[30:31], v[60:61], v[30:31]
	s_delay_alu instid0(VALU_DEP_3) | instskip(SKIP_1) | instid1(VALU_DEP_3)
	v_add_f64_e32 v[118:119], v[32:33], v[28:29]
	v_add_f64_e32 v[28:29], v[94:95], v[114:115]
	;; [unrolled: 1-line block ×4, first 2 shown]
	v_add_nc_u32_e32 v100, 0x550, v246
	s_delay_alu instid0(VALU_DEP_4) | instskip(NEXT) | instid1(VALU_DEP_3)
	v_add_f64_e32 v[28:29], v[28:29], v[116:117]
	v_add_f64_e32 v[30:31], v[30:31], v[40:41]
	s_delay_alu instid0(VALU_DEP_2) | instskip(NEXT) | instid1(VALU_DEP_2)
	v_add_f64_e32 v[28:29], v[28:29], v[46:47]
	v_add_f64_e32 v[30:31], v[30:31], v[48:49]
	s_delay_alu instid0(VALU_DEP_2) | instskip(NEXT) | instid1(VALU_DEP_2)
	;; [unrolled: 3-line block ×9, first 2 shown]
	v_add_f64_e32 v[12:13], v[18:19], v[12:13]
	v_add_f64_e32 v[14:15], v[14:15], v[16:17]
	ds_store_b128 v244, v[148:151] offset:1904
	ds_store_b128 v244, v[152:155] offset:2176
	;; [unrolled: 1-line block ×7, first 2 shown]
	ds_store_b128 v244, v[12:15]
	global_wb scope:SCOPE_SE
	s_wait_dscnt 0x0
	s_barrier_signal -1
	s_barrier_wait -1
	global_inv scope:SCOPE_SE
	ds_load_b128 v[16:19], v243
	ds_load_b128 v[12:15], v243 offset:1360
	ds_load_b128 v[52:55], v243 offset:3536
	;; [unrolled: 1-line block ×9, first 2 shown]
	s_and_saveexec_b32 s1, s0
	s_cbranch_execz .LBB0_19
; %bb.18:
	ds_load_b128 v[4:7], v243 offset:2720
	ds_load_b128 v[8:11], v243 offset:6256
	;; [unrolled: 1-line block ×4, first 2 shown]
	s_wait_dscnt 0x0
	scratch_store_b128 off, v[20:23], off offset:68 ; 16-byte Folded Spill
	ds_load_b128 v[20:23], v243 offset:16864
	s_wait_dscnt 0x0
	scratch_store_b128 off, v[20:23], off offset:52 ; 16-byte Folded Spill
.LBB0_19:
	s_wait_alu 0xfffe
	s_or_b32 exec_lo, exec_lo, s1
	s_clause 0x3
	scratch_load_b128 v[107:110], off, off offset:292 th:TH_LOAD_LU
	scratch_load_b128 v[101:104], off, off offset:260 th:TH_LOAD_LU
	;; [unrolled: 1-line block ×4, first 2 shown]
	s_wait_dscnt 0x6
	v_mul_f64_e32 v[60:61], v[86:87], v[38:39]
	s_wait_dscnt 0x0
	v_mul_f64_e32 v[68:69], v[90:91], v[50:51]
	v_mul_f64_e32 v[66:67], v[86:87], v[36:37]
	;; [unrolled: 1-line block ×3, first 2 shown]
	s_mov_b32 s2, 0x134454ff
	s_mov_b32 s3, 0xbfee6f0e
	;; [unrolled: 1-line block ×3, first 2 shown]
	s_wait_alu 0xfffe
	s_mov_b32 s10, s2
	s_mov_b32 s16, 0x4755a5e
	;; [unrolled: 1-line block ×4, first 2 shown]
	s_wait_alu 0xfffe
	s_mov_b32 s14, s16
	s_mov_b32 s18, 0x372fe950
	;; [unrolled: 1-line block ×3, first 2 shown]
	s_delay_alu instid0(VALU_DEP_4) | instskip(NEXT) | instid1(VALU_DEP_4)
	v_fma_f64 v[36:37], v[84:85], v[36:37], v[60:61]
	v_fma_f64 v[48:49], v[88:89], v[48:49], v[68:69]
	s_delay_alu instid0(VALU_DEP_4) | instskip(NEXT) | instid1(VALU_DEP_4)
	v_fma_f64 v[38:39], v[84:85], v[38:39], -v[66:67]
	v_fma_f64 v[50:51], v[88:89], v[50:51], -v[74:75]
	s_delay_alu instid0(VALU_DEP_3) | instskip(NEXT) | instid1(VALU_DEP_2)
	v_add_f64_e64 v[84:85], v[36:37], -v[48:49]
	v_add_f64_e32 v[66:67], v[38:39], v[50:51]
	s_wait_loadcnt 0x3
	v_mul_f64_e32 v[24:25], v[109:110], v[94:95]
	s_wait_loadcnt 0x2
	v_mul_f64_e32 v[28:29], v[103:104], v[98:99]
	v_mul_f64_e32 v[32:33], v[109:110], v[92:93]
	;; [unrolled: 1-line block ×3, first 2 shown]
	s_clause 0x1
	scratch_load_b128 v[103:106], off, off offset:276 th:TH_LOAD_LU
	scratch_load_b128 v[109:112], off, off offset:308 th:TH_LOAD_LU
	s_wait_loadcnt 0x3
	v_mul_f64_e32 v[20:21], v[78:79], v[54:55]
	s_wait_loadcnt 0x2
	v_mul_f64_e32 v[22:23], v[82:83], v[58:59]
	v_mul_f64_e32 v[26:27], v[78:79], v[52:53]
	;; [unrolled: 1-line block ×3, first 2 shown]
	v_add_f64_e32 v[78:79], v[14:15], v[38:39]
	v_add_f64_e64 v[82:83], v[38:39], -v[50:51]
	v_fma_f64 v[24:25], v[107:108], v[92:93], v[24:25]
	v_fma_f64 v[28:29], v[101:102], v[96:97], v[28:29]
	v_fma_f64 v[32:33], v[107:108], v[94:95], -v[32:33]
	v_fma_f64 v[34:35], v[101:102], v[98:99], -v[34:35]
	v_fma_f64 v[20:21], v[76:77], v[52:53], v[20:21]
	v_fma_f64 v[22:23], v[80:81], v[56:57], v[22:23]
	v_fma_f64 v[26:27], v[76:77], v[54:55], -v[26:27]
	v_fma_f64 v[30:31], v[80:81], v[58:59], -v[30:31]
	v_add_f64_e32 v[76:77], v[12:13], v[36:37]
	v_add_f64_e64 v[86:87], v[28:29], -v[24:25]
	v_add_f64_e64 v[88:89], v[24:25], -v[28:29]
	;; [unrolled: 1-line block ×4, first 2 shown]
	v_add_f64_e32 v[54:55], v[20:21], v[28:29]
	v_add_f64_e32 v[52:53], v[22:23], v[24:25]
	;; [unrolled: 1-line block ×6, first 2 shown]
	v_add_f64_e64 v[80:81], v[20:21], -v[28:29]
	v_add_f64_e64 v[90:91], v[26:27], -v[30:31]
	v_fma_f64 v[52:53], v[52:53], -0.5, v[16:17]
	v_fma_f64 v[16:17], v[54:55], -0.5, v[16:17]
	;; [unrolled: 1-line block ×4, first 2 shown]
	v_add_f64_e64 v[54:55], v[22:23], -v[24:25]
	s_wait_loadcnt 0x1
	v_mul_f64_e32 v[62:63], v[105:106], v[42:43]
	s_wait_loadcnt 0x0
	v_mul_f64_e32 v[64:65], v[111:112], v[46:47]
	v_mul_f64_e32 v[70:71], v[105:106], v[40:41]
	;; [unrolled: 1-line block ×3, first 2 shown]
	s_delay_alu instid0(VALU_DEP_4) | instskip(NEXT) | instid1(VALU_DEP_4)
	v_fma_f64 v[40:41], v[103:104], v[40:41], v[62:63]
	v_fma_f64 v[44:45], v[109:110], v[44:45], v[64:65]
	s_delay_alu instid0(VALU_DEP_4) | instskip(NEXT) | instid1(VALU_DEP_4)
	v_fma_f64 v[42:43], v[103:104], v[42:43], -v[70:71]
	v_fma_f64 v[46:47], v[109:110], v[46:47], -v[72:73]
	v_add_f64_e32 v[62:63], v[36:37], v[48:49]
	v_add_f64_e64 v[72:73], v[30:31], -v[32:33]
	v_add_f64_e64 v[70:71], v[26:27], -v[34:35]
	;; [unrolled: 1-line block ×3, first 2 shown]
	v_add_f64_e32 v[30:31], v[74:75], v[30:31]
	v_add_f64_e64 v[96:97], v[36:37], -v[40:41]
	v_add_f64_e32 v[60:61], v[40:41], v[44:45]
	v_add_f64_e64 v[98:99], v[48:49], -v[44:45]
	v_add_f64_e32 v[64:65], v[42:43], v[46:47]
	v_add_f64_e64 v[58:59], v[42:43], -v[46:47]
	v_add_f64_e64 v[103:104], v[38:39], -v[42:43]
	v_add_f64_e64 v[38:39], v[42:43], -v[38:39]
	;; [unrolled: 1-line block ×3, first 2 shown]
	v_add_f64_e32 v[42:43], v[78:79], v[42:43]
	v_fma_f64 v[74:75], v[72:73], s[10:11], v[16:17]
	v_fma_f64 v[16:17], v[72:73], s[2:3], v[16:17]
	v_add_f64_e64 v[36:37], v[40:41], -v[36:37]
	v_add_f64_e64 v[101:102], v[44:45], -v[48:49]
	v_fma_f64 v[78:79], v[54:55], s[2:3], v[18:19]
	v_fma_f64 v[18:19], v[54:55], s[10:11], v[18:19]
	v_add_f64_e64 v[105:106], v[50:51], -v[46:47]
	v_add_f64_e32 v[26:27], v[26:27], v[94:95]
	v_fma_f64 v[60:61], v[60:61], -0.5, v[12:13]
	v_fma_f64 v[12:13], v[62:63], -0.5, v[12:13]
	;; [unrolled: 1-line block ×4, first 2 shown]
	v_add_f64_e64 v[66:67], v[20:21], -v[22:23]
	v_add_f64_e64 v[20:21], v[22:23], -v[20:21]
	v_add_f64_e32 v[22:23], v[68:69], v[22:23]
	v_fma_f64 v[68:69], v[70:71], s[2:3], v[52:53]
	v_fma_f64 v[52:53], v[70:71], s[10:11], v[52:53]
	v_add_f64_e64 v[62:63], v[40:41], -v[44:45]
	v_add_f64_e32 v[40:41], v[76:77], v[40:41]
	v_fma_f64 v[76:77], v[80:81], s[10:11], v[56:57]
	v_fma_f64 v[56:57], v[80:81], s[2:3], v[56:57]
	v_add_f64_e32 v[94:95], v[103:104], v[105:106]
	v_fma_f64 v[109:110], v[82:83], s[2:3], v[60:61]
	v_fma_f64 v[111:112], v[58:59], s[10:11], v[12:13]
	;; [unrolled: 1-line block ×4, first 2 shown]
	v_add_f64_e32 v[66:67], v[66:67], v[86:87]
	v_add_f64_e32 v[86:87], v[20:21], v[88:89]
	;; [unrolled: 1-line block ×8, first 2 shown]
	v_fma_f64 v[38:39], v[70:71], s[16:17], v[74:75]
	s_wait_alu 0xfffe
	v_fma_f64 v[42:43], v[70:71], s[14:15], v[16:17]
	v_fma_f64 v[60:61], v[82:83], s[10:11], v[60:61]
	;; [unrolled: 1-line block ×5, first 2 shown]
	v_add_f64_e32 v[24:25], v[40:41], v[44:45]
	v_fma_f64 v[32:33], v[72:73], s[16:17], v[68:69]
	v_fma_f64 v[46:47], v[54:55], s[14:15], v[76:77]
	v_add_f64_e32 v[92:93], v[36:37], v[101:102]
	v_fma_f64 v[36:37], v[72:73], s[14:15], v[52:53]
	v_fma_f64 v[52:53], v[54:55], s[16:17], v[56:57]
	;; [unrolled: 1-line block ×6, first 2 shown]
	scratch_load_b32 v12, off, off offset:4 th:TH_LOAD_LU ; 4-byte Folded Reload
	v_fma_f64 v[72:73], v[62:63], s[14:15], v[113:114]
	v_fma_f64 v[40:41], v[86:87], s[18:19], v[38:39]
	;; [unrolled: 1-line block ×8, first 2 shown]
	v_add_f64_e32 v[13:14], v[20:21], v[28:29]
	v_add_f64_e32 v[15:16], v[22:23], v[34:35]
	;; [unrolled: 1-line block ×4, first 2 shown]
	v_fma_f64 v[21:22], v[66:67], s[18:19], v[32:33]
	v_fma_f64 v[23:24], v[88:89], s[18:19], v[46:47]
	;; [unrolled: 1-line block ×14, first 2 shown]
	ds_store_b128 v245, v[13:16]
	ds_store_b128 v245, v[17:20] offset:1360
	ds_store_b128 v245, v[21:24] offset:3536
	;; [unrolled: 1-line block ×9, first 2 shown]
	s_wait_loadcnt 0x0
	v_lshl_add_u32 v12, v12, 4, v255
	s_and_saveexec_b32 s1, s0
	s_cbranch_execz .LBB0_21
; %bb.20:
	s_clause 0x5
	scratch_load_b128 v[29:32], off, off offset:356 th:TH_LOAD_LU
	scratch_load_b128 v[37:40], off, off offset:388 th:TH_LOAD_LU
	;; [unrolled: 1-line block ×6, first 2 shown]
	s_wait_loadcnt 0x5
	v_mul_f64_e32 v[13:14], v[31:32], v[0:1]
	s_wait_loadcnt 0x4
	v_mul_f64_e32 v[15:16], v[39:40], v[8:9]
	;; [unrolled: 2-line block ×4, first 2 shown]
	v_mul_f64_e32 v[21:22], v[31:32], v[2:3]
	v_mul_f64_e32 v[23:24], v[35:36], v[51:52]
	;; [unrolled: 1-line block ×4, first 2 shown]
	v_fma_f64 v[2:3], v[29:30], v[2:3], -v[13:14]
	v_fma_f64 v[10:11], v[37:38], v[10:11], -v[15:16]
	;; [unrolled: 1-line block ×4, first 2 shown]
	v_fma_f64 v[0:1], v[29:30], v[0:1], v[21:22]
	v_fma_f64 v[17:18], v[33:34], v[49:50], v[23:24]
	;; [unrolled: 1-line block ×4, first 2 shown]
	v_add_f64_e32 v[33:34], v[6:7], v[10:11]
	v_add_f64_e32 v[21:22], v[10:11], v[13:14]
	;; [unrolled: 1-line block ×3, first 2 shown]
	v_add_f64_e64 v[37:38], v[10:11], -v[13:14]
	v_add_f64_e32 v[25:26], v[0:1], v[17:18]
	v_add_f64_e32 v[35:36], v[4:5], v[8:9]
	;; [unrolled: 1-line block ×3, first 2 shown]
	v_add_f64_e64 v[29:30], v[0:1], -v[17:18]
	v_add_f64_e64 v[31:32], v[8:9], -v[19:20]
	;; [unrolled: 1-line block ×8, first 2 shown]
	v_fma_f64 v[21:22], v[21:22], -0.5, v[6:7]
	v_fma_f64 v[6:7], v[23:24], -0.5, v[6:7]
	v_add_f64_e64 v[23:24], v[2:3], -v[15:16]
	v_fma_f64 v[25:26], v[25:26], -0.5, v[4:5]
	v_add_f64_e32 v[0:1], v[35:36], v[0:1]
	v_fma_f64 v[4:5], v[27:28], -0.5, v[4:5]
	v_add_f64_e64 v[27:28], v[2:3], -v[10:11]
	v_add_f64_e64 v[10:11], v[10:11], -v[2:3]
	v_add_f64_e32 v[2:3], v[33:34], v[2:3]
	v_fma_f64 v[33:34], v[29:30], s[10:11], v[21:22]
	v_fma_f64 v[21:22], v[29:30], s[2:3], v[21:22]
	;; [unrolled: 1-line block ×8, first 2 shown]
	v_add_f64_e32 v[2:3], v[2:3], v[15:16]
	v_add_f64_e32 v[0:1], v[0:1], v[17:18]
	;; [unrolled: 1-line block ×6, first 2 shown]
	v_fma_f64 v[8:9], v[31:32], s[16:17], v[33:34]
	v_fma_f64 v[10:11], v[31:32], s[14:15], v[21:22]
	;; [unrolled: 1-line block ×8, first 2 shown]
	v_add_f64_e32 v[2:3], v[2:3], v[13:14]
	v_add_f64_e32 v[0:1], v[0:1], v[19:20]
	v_fma_f64 v[6:7], v[27:28], s[18:19], v[8:9]
	v_fma_f64 v[10:11], v[27:28], s[18:19], v[10:11]
	;; [unrolled: 1-line block ×8, first 2 shown]
	ds_store_b128 v12, v[0:3] offset:2720
	ds_store_b128 v12, v[17:20] offset:6256
	;; [unrolled: 1-line block ×5, first 2 shown]
.LBB0_21:
	s_wait_alu 0xfffe
	s_or_b32 exec_lo, exec_lo, s1
	global_wb scope:SCOPE_SE
	s_wait_storecnt_dscnt 0x0
	s_barrier_signal -1
	s_barrier_wait -1
	global_inv scope:SCOPE_SE
	scratch_load_b64 v[15:16], off, off offset:44 ; 8-byte Folded Reload
	s_and_b32 s0, exec_lo, vcc_lo
	s_wait_alu 0xfffe
	s_mov_b32 exec_lo, s0
	s_cbranch_execz .LBB0_23
; %bb.22:
	global_load_b128 v[0:3], v255, s[8:9]
	ds_load_b128 v[4:7], v245
	ds_load_b128 v[8:11], v12 offset:1040
	scratch_load_b32 v16, off, off th:TH_LOAD_LU ; 4-byte Folded Reload
	s_mov_b32 s0, 0x1da7801e
	s_mov_b32 s1, 0x3f4da780
	s_mul_u64 s[2:3], s[4:5], 0x410
	s_wait_loadcnt_dscnt 0x101
	v_mul_f64_e32 v[13:14], v[6:7], v[2:3]
	v_mul_f64_e32 v[2:3], v[4:5], v[2:3]
	s_delay_alu instid0(VALU_DEP_2) | instskip(NEXT) | instid1(VALU_DEP_2)
	v_fma_f64 v[4:5], v[4:5], v[0:1], v[13:14]
	v_fma_f64 v[2:3], v[0:1], v[6:7], -v[2:3]
	v_mad_co_u64_u32 v[6:7], null, s6, v15, 0
	s_wait_loadcnt 0x0
	v_mad_co_u64_u32 v[13:14], null, s4, v16, 0
	s_wait_alu 0xfffe
	s_delay_alu instid0(VALU_DEP_4) | instskip(NEXT) | instid1(VALU_DEP_4)
	v_mul_f64_e32 v[0:1], s[0:1], v[4:5]
	v_mul_f64_e32 v[2:3], s[0:1], v[2:3]
	s_delay_alu instid0(VALU_DEP_3) | instskip(NEXT) | instid1(VALU_DEP_1)
	v_dual_mov_b32 v4, v7 :: v_dual_mov_b32 v5, v14
	v_mad_co_u64_u32 v[14:15], null, s7, v15, v[4:5]
	v_mad_co_u64_u32 v[4:5], null, s5, v16, v[5:6]
	s_delay_alu instid0(VALU_DEP_1) | instskip(NEXT) | instid1(VALU_DEP_1)
	v_dual_mov_b32 v7, v14 :: v_dual_mov_b32 v14, v4
	v_lshlrev_b64_e32 v[4:5], 4, v[6:7]
	s_delay_alu instid0(VALU_DEP_2) | instskip(NEXT) | instid1(VALU_DEP_2)
	v_lshlrev_b64_e32 v[6:7], 4, v[13:14]
	v_add_co_u32 v4, vcc_lo, s12, v4
	s_delay_alu instid0(VALU_DEP_3) | instskip(NEXT) | instid1(VALU_DEP_2)
	v_add_co_ci_u32_e32 v5, vcc_lo, s13, v5, vcc_lo
	v_add_co_u32 v4, vcc_lo, v4, v6
	s_wait_alu 0xfffd
	s_delay_alu instid0(VALU_DEP_2) | instskip(NEXT) | instid1(VALU_DEP_2)
	v_add_co_ci_u32_e32 v5, vcc_lo, v5, v7, vcc_lo
	v_add_co_u32 v13, vcc_lo, v4, s2
	global_store_b128 v[4:5], v[0:3], off
	global_load_b128 v[0:3], v255, s[8:9] offset:1040
	s_wait_alu 0xfffd
	v_add_co_ci_u32_e32 v14, vcc_lo, s3, v5, vcc_lo
	s_wait_loadcnt_dscnt 0x0
	v_mul_f64_e32 v[6:7], v[10:11], v[2:3]
	v_mul_f64_e32 v[2:3], v[8:9], v[2:3]
	s_delay_alu instid0(VALU_DEP_2) | instskip(NEXT) | instid1(VALU_DEP_2)
	v_fma_f64 v[6:7], v[8:9], v[0:1], v[6:7]
	v_fma_f64 v[2:3], v[0:1], v[10:11], -v[2:3]
	s_delay_alu instid0(VALU_DEP_2) | instskip(NEXT) | instid1(VALU_DEP_2)
	v_mul_f64_e32 v[0:1], s[0:1], v[6:7]
	v_mul_f64_e32 v[2:3], s[0:1], v[2:3]
	global_store_b128 v[13:14], v[0:3], off
	global_load_b128 v[0:3], v255, s[8:9] offset:2080
	ds_load_b128 v[4:7], v12 offset:2080
	ds_load_b128 v[8:11], v12 offset:3120
	s_wait_loadcnt_dscnt 0x1
	v_mul_f64_e32 v[15:16], v[6:7], v[2:3]
	v_mul_f64_e32 v[2:3], v[4:5], v[2:3]
	s_delay_alu instid0(VALU_DEP_2) | instskip(NEXT) | instid1(VALU_DEP_2)
	v_fma_f64 v[4:5], v[4:5], v[0:1], v[15:16]
	v_fma_f64 v[2:3], v[0:1], v[6:7], -v[2:3]
	s_delay_alu instid0(VALU_DEP_2) | instskip(NEXT) | instid1(VALU_DEP_2)
	v_mul_f64_e32 v[0:1], s[0:1], v[4:5]
	v_mul_f64_e32 v[2:3], s[0:1], v[2:3]
	v_add_co_u32 v4, vcc_lo, v13, s2
	s_wait_alu 0xfffd
	v_add_co_ci_u32_e32 v5, vcc_lo, s3, v14, vcc_lo
	s_delay_alu instid0(VALU_DEP_2) | instskip(SKIP_1) | instid1(VALU_DEP_2)
	v_add_co_u32 v13, vcc_lo, v4, s2
	s_wait_alu 0xfffd
	v_add_co_ci_u32_e32 v14, vcc_lo, s3, v5, vcc_lo
	global_store_b128 v[4:5], v[0:3], off
	global_load_b128 v[0:3], v255, s[8:9] offset:3120
	s_wait_loadcnt_dscnt 0x0
	v_mul_f64_e32 v[6:7], v[10:11], v[2:3]
	v_mul_f64_e32 v[2:3], v[8:9], v[2:3]
	s_delay_alu instid0(VALU_DEP_2) | instskip(NEXT) | instid1(VALU_DEP_2)
	v_fma_f64 v[6:7], v[8:9], v[0:1], v[6:7]
	v_fma_f64 v[2:3], v[0:1], v[10:11], -v[2:3]
	s_delay_alu instid0(VALU_DEP_2) | instskip(NEXT) | instid1(VALU_DEP_2)
	v_mul_f64_e32 v[0:1], s[0:1], v[6:7]
	v_mul_f64_e32 v[2:3], s[0:1], v[2:3]
	global_store_b128 v[13:14], v[0:3], off
	global_load_b128 v[0:3], v255, s[8:9] offset:4160
	ds_load_b128 v[4:7], v12 offset:4160
	ds_load_b128 v[8:11], v12 offset:5200
	s_wait_loadcnt_dscnt 0x1
	v_mul_f64_e32 v[15:16], v[6:7], v[2:3]
	v_mul_f64_e32 v[2:3], v[4:5], v[2:3]
	s_delay_alu instid0(VALU_DEP_2) | instskip(NEXT) | instid1(VALU_DEP_2)
	v_fma_f64 v[4:5], v[4:5], v[0:1], v[15:16]
	v_fma_f64 v[2:3], v[0:1], v[6:7], -v[2:3]
	s_delay_alu instid0(VALU_DEP_2) | instskip(NEXT) | instid1(VALU_DEP_2)
	v_mul_f64_e32 v[0:1], s[0:1], v[4:5]
	v_mul_f64_e32 v[2:3], s[0:1], v[2:3]
	v_add_co_u32 v4, vcc_lo, v13, s2
	s_wait_alu 0xfffd
	v_add_co_ci_u32_e32 v5, vcc_lo, s3, v14, vcc_lo
	s_delay_alu instid0(VALU_DEP_2) | instskip(SKIP_1) | instid1(VALU_DEP_2)
	v_add_co_u32 v13, vcc_lo, v4, s2
	s_wait_alu 0xfffd
	v_add_co_ci_u32_e32 v14, vcc_lo, s3, v5, vcc_lo
	global_store_b128 v[4:5], v[0:3], off
	global_load_b128 v[0:3], v255, s[8:9] offset:5200
	;; [unrolled: 31-line block ×6, first 2 shown]
	s_wait_loadcnt_dscnt 0x0
	v_mul_f64_e32 v[6:7], v[10:11], v[2:3]
	v_mul_f64_e32 v[2:3], v[8:9], v[2:3]
	s_delay_alu instid0(VALU_DEP_2) | instskip(NEXT) | instid1(VALU_DEP_2)
	v_fma_f64 v[6:7], v[8:9], v[0:1], v[6:7]
	v_fma_f64 v[2:3], v[0:1], v[10:11], -v[2:3]
	s_delay_alu instid0(VALU_DEP_2) | instskip(NEXT) | instid1(VALU_DEP_2)
	v_mul_f64_e32 v[0:1], s[0:1], v[6:7]
	v_mul_f64_e32 v[2:3], s[0:1], v[2:3]
	global_store_b128 v[13:14], v[0:3], off
	global_load_b128 v[0:3], v255, s[8:9] offset:14560
	ds_load_b128 v[4:7], v12 offset:14560
	ds_load_b128 v[8:11], v12 offset:15600
	s_wait_loadcnt_dscnt 0x1
	v_mul_f64_e32 v[15:16], v[6:7], v[2:3]
	v_mul_f64_e32 v[2:3], v[4:5], v[2:3]
	s_delay_alu instid0(VALU_DEP_2) | instskip(NEXT) | instid1(VALU_DEP_2)
	v_fma_f64 v[4:5], v[4:5], v[0:1], v[15:16]
	v_fma_f64 v[2:3], v[0:1], v[6:7], -v[2:3]
	s_delay_alu instid0(VALU_DEP_2) | instskip(NEXT) | instid1(VALU_DEP_2)
	v_mul_f64_e32 v[0:1], s[0:1], v[4:5]
	v_mul_f64_e32 v[2:3], s[0:1], v[2:3]
	v_add_co_u32 v4, vcc_lo, v13, s2
	s_wait_alu 0xfffd
	v_add_co_ci_u32_e32 v5, vcc_lo, s3, v14, vcc_lo
	global_store_b128 v[4:5], v[0:3], off
	global_load_b128 v[0:3], v255, s[8:9] offset:15600
	s_wait_loadcnt_dscnt 0x0
	v_mul_f64_e32 v[6:7], v[10:11], v[2:3]
	v_mul_f64_e32 v[2:3], v[8:9], v[2:3]
	s_delay_alu instid0(VALU_DEP_2) | instskip(NEXT) | instid1(VALU_DEP_2)
	v_fma_f64 v[6:7], v[8:9], v[0:1], v[6:7]
	v_fma_f64 v[2:3], v[0:1], v[10:11], -v[2:3]
	v_add_co_u32 v8, vcc_lo, v4, s2
	s_wait_alu 0xfffd
	v_add_co_ci_u32_e32 v9, vcc_lo, s3, v5, vcc_lo
	s_delay_alu instid0(VALU_DEP_4) | instskip(NEXT) | instid1(VALU_DEP_4)
	v_mul_f64_e32 v[0:1], s[0:1], v[6:7]
	v_mul_f64_e32 v[2:3], s[0:1], v[2:3]
	ds_load_b128 v[4:7], v12 offset:16640
	global_store_b128 v[8:9], v[0:3], off
	global_load_b128 v[0:3], v255, s[8:9] offset:16640
	s_wait_loadcnt_dscnt 0x0
	v_mul_f64_e32 v[10:11], v[6:7], v[2:3]
	v_mul_f64_e32 v[2:3], v[4:5], v[2:3]
	s_delay_alu instid0(VALU_DEP_2) | instskip(NEXT) | instid1(VALU_DEP_2)
	v_fma_f64 v[4:5], v[4:5], v[0:1], v[10:11]
	v_fma_f64 v[2:3], v[0:1], v[6:7], -v[2:3]
	s_delay_alu instid0(VALU_DEP_2) | instskip(NEXT) | instid1(VALU_DEP_2)
	v_mul_f64_e32 v[0:1], s[0:1], v[4:5]
	v_mul_f64_e32 v[2:3], s[0:1], v[2:3]
	v_add_co_u32 v4, vcc_lo, v8, s2
	s_wait_alu 0xfffd
	v_add_co_ci_u32_e32 v5, vcc_lo, s3, v9, vcc_lo
	global_store_b128 v[4:5], v[0:3], off
.LBB0_23:
	s_nop 0
	s_sendmsg sendmsg(MSG_DEALLOC_VGPRS)
	s_endpgm
	.section	.rodata,"a",@progbits
	.p2align	6, 0x0
	.amdhsa_kernel bluestein_single_fwd_len1105_dim1_dp_op_CI_CI
		.amdhsa_group_segment_fixed_size 53040
		.amdhsa_private_segment_fixed_size 424
		.amdhsa_kernarg_size 104
		.amdhsa_user_sgpr_count 2
		.amdhsa_user_sgpr_dispatch_ptr 0
		.amdhsa_user_sgpr_queue_ptr 0
		.amdhsa_user_sgpr_kernarg_segment_ptr 1
		.amdhsa_user_sgpr_dispatch_id 0
		.amdhsa_user_sgpr_private_segment_size 0
		.amdhsa_wavefront_size32 1
		.amdhsa_uses_dynamic_stack 0
		.amdhsa_enable_private_segment 1
		.amdhsa_system_sgpr_workgroup_id_x 1
		.amdhsa_system_sgpr_workgroup_id_y 0
		.amdhsa_system_sgpr_workgroup_id_z 0
		.amdhsa_system_sgpr_workgroup_info 0
		.amdhsa_system_vgpr_workitem_id 0
		.amdhsa_next_free_vgpr 256
		.amdhsa_next_free_sgpr 58
		.amdhsa_reserve_vcc 1
		.amdhsa_float_round_mode_32 0
		.amdhsa_float_round_mode_16_64 0
		.amdhsa_float_denorm_mode_32 3
		.amdhsa_float_denorm_mode_16_64 3
		.amdhsa_fp16_overflow 0
		.amdhsa_workgroup_processor_mode 1
		.amdhsa_memory_ordered 1
		.amdhsa_forward_progress 0
		.amdhsa_round_robin_scheduling 0
		.amdhsa_exception_fp_ieee_invalid_op 0
		.amdhsa_exception_fp_denorm_src 0
		.amdhsa_exception_fp_ieee_div_zero 0
		.amdhsa_exception_fp_ieee_overflow 0
		.amdhsa_exception_fp_ieee_underflow 0
		.amdhsa_exception_fp_ieee_inexact 0
		.amdhsa_exception_int_div_zero 0
	.end_amdhsa_kernel
	.text
.Lfunc_end0:
	.size	bluestein_single_fwd_len1105_dim1_dp_op_CI_CI, .Lfunc_end0-bluestein_single_fwd_len1105_dim1_dp_op_CI_CI
                                        ; -- End function
	.section	.AMDGPU.csdata,"",@progbits
; Kernel info:
; codeLenInByte = 28104
; NumSgprs: 60
; NumVgprs: 256
; ScratchSize: 424
; MemoryBound: 0
; FloatMode: 240
; IeeeMode: 1
; LDSByteSize: 53040 bytes/workgroup (compile time only)
; SGPRBlocks: 7
; VGPRBlocks: 31
; NumSGPRsForWavesPerEU: 60
; NumVGPRsForWavesPerEU: 256
; Occupancy: 4
; WaveLimiterHint : 1
; COMPUTE_PGM_RSRC2:SCRATCH_EN: 1
; COMPUTE_PGM_RSRC2:USER_SGPR: 2
; COMPUTE_PGM_RSRC2:TRAP_HANDLER: 0
; COMPUTE_PGM_RSRC2:TGID_X_EN: 1
; COMPUTE_PGM_RSRC2:TGID_Y_EN: 0
; COMPUTE_PGM_RSRC2:TGID_Z_EN: 0
; COMPUTE_PGM_RSRC2:TIDIG_COMP_CNT: 0
	.text
	.p2alignl 7, 3214868480
	.fill 96, 4, 3214868480
	.type	__hip_cuid_ac07a520b0396ef1,@object ; @__hip_cuid_ac07a520b0396ef1
	.section	.bss,"aw",@nobits
	.globl	__hip_cuid_ac07a520b0396ef1
__hip_cuid_ac07a520b0396ef1:
	.byte	0                               ; 0x0
	.size	__hip_cuid_ac07a520b0396ef1, 1

	.ident	"AMD clang version 19.0.0git (https://github.com/RadeonOpenCompute/llvm-project roc-6.4.0 25133 c7fe45cf4b819c5991fe208aaa96edf142730f1d)"
	.section	".note.GNU-stack","",@progbits
	.addrsig
	.addrsig_sym __hip_cuid_ac07a520b0396ef1
	.amdgpu_metadata
---
amdhsa.kernels:
  - .args:
      - .actual_access:  read_only
        .address_space:  global
        .offset:         0
        .size:           8
        .value_kind:     global_buffer
      - .actual_access:  read_only
        .address_space:  global
        .offset:         8
        .size:           8
        .value_kind:     global_buffer
      - .actual_access:  read_only
        .address_space:  global
        .offset:         16
        .size:           8
        .value_kind:     global_buffer
      - .actual_access:  read_only
        .address_space:  global
        .offset:         24
        .size:           8
        .value_kind:     global_buffer
      - .actual_access:  read_only
        .address_space:  global
        .offset:         32
        .size:           8
        .value_kind:     global_buffer
      - .offset:         40
        .size:           8
        .value_kind:     by_value
      - .address_space:  global
        .offset:         48
        .size:           8
        .value_kind:     global_buffer
      - .address_space:  global
        .offset:         56
        .size:           8
        .value_kind:     global_buffer
      - .address_space:  global
        .offset:         64
        .size:           8
        .value_kind:     global_buffer
      - .address_space:  global
        .offset:         72
        .size:           8
        .value_kind:     global_buffer
      - .offset:         80
        .size:           4
        .value_kind:     by_value
      - .address_space:  global
        .offset:         88
        .size:           8
        .value_kind:     global_buffer
      - .address_space:  global
        .offset:         96
        .size:           8
        .value_kind:     global_buffer
    .group_segment_fixed_size: 53040
    .kernarg_segment_align: 8
    .kernarg_segment_size: 104
    .language:       OpenCL C
    .language_version:
      - 2
      - 0
    .max_flat_workgroup_size: 255
    .name:           bluestein_single_fwd_len1105_dim1_dp_op_CI_CI
    .private_segment_fixed_size: 424
    .sgpr_count:     60
    .sgpr_spill_count: 0
    .symbol:         bluestein_single_fwd_len1105_dim1_dp_op_CI_CI.kd
    .uniform_work_group_size: 1
    .uses_dynamic_stack: false
    .vgpr_count:     256
    .vgpr_spill_count: 147
    .wavefront_size: 32
    .workgroup_processor_mode: 1
amdhsa.target:   amdgcn-amd-amdhsa--gfx1201
amdhsa.version:
  - 1
  - 2
...

	.end_amdgpu_metadata
